;; amdgpu-corpus repo=ROCm/rocFFT kind=compiled arch=gfx1201 opt=O3
	.text
	.amdgcn_target "amdgcn-amd-amdhsa--gfx1201"
	.amdhsa_code_object_version 6
	.protected	bluestein_single_back_len840_dim1_half_op_CI_CI ; -- Begin function bluestein_single_back_len840_dim1_half_op_CI_CI
	.globl	bluestein_single_back_len840_dim1_half_op_CI_CI
	.p2align	8
	.type	bluestein_single_back_len840_dim1_half_op_CI_CI,@function
bluestein_single_back_len840_dim1_half_op_CI_CI: ; @bluestein_single_back_len840_dim1_half_op_CI_CI
; %bb.0:
	s_load_b128 s[8:11], s[0:1], 0x28
	v_mul_u32_u24_e32 v1, 0x493, v0
	s_mov_b32 s2, exec_lo
	v_mov_b32_e32 v27, 0
	s_delay_alu instid0(VALU_DEP_2) | instskip(NEXT) | instid1(VALU_DEP_1)
	v_lshrrev_b32_e32 v1, 16, v1
	v_add_nc_u32_e32 v26, ttmp9, v1
	s_wait_kmcnt 0x0
	s_delay_alu instid0(VALU_DEP_1)
	v_cmpx_gt_u64_e64 s[8:9], v[26:27]
	s_cbranch_execz .LBB0_39
; %bb.1:
	s_clause 0x1
	s_load_b128 s[4:7], s[0:1], 0x18
	s_load_b64 s[16:17], s[0:1], 0x0
	v_mul_lo_u16 v1, v1, 56
	s_movk_i32 s2, 0xfe94
	s_mov_b32 s3, -1
	s_delay_alu instid0(VALU_DEP_1) | instskip(NEXT) | instid1(VALU_DEP_1)
	v_sub_nc_u16 v7, v0, v1
	v_and_b32_e32 v77, 0xffff, v7
	s_delay_alu instid0(VALU_DEP_1)
	v_lshlrev_b32_e32 v55, 2, v77
	s_wait_kmcnt 0x0
	s_load_b128 s[12:15], s[4:5], 0x0
	s_clause 0xc
	global_load_b32 v80, v55, s[16:17]
	global_load_b32 v79, v55, s[16:17] offset:224
	global_load_b32 v73, v55, s[16:17] offset:448
	;; [unrolled: 1-line block ×12, first 2 shown]
	v_add_nc_u32_e32 v12, 0x800, v55
	s_wait_kmcnt 0x0
	v_mad_co_u64_u32 v[0:1], null, s14, v26, 0
	v_mad_co_u64_u32 v[2:3], null, s12, v77, 0
	s_mul_u64 s[4:5], s[12:13], 0x1a4
	s_mul_u64 s[2:3], s[12:13], s[2:3]
	s_delay_alu instid0(SALU_CYCLE_1) | instskip(NEXT) | instid1(VALU_DEP_1)
	s_lshl_b64 s[2:3], s[2:3], 2
	v_mad_co_u64_u32 v[4:5], null, s15, v26, v[1:2]
	s_delay_alu instid0(VALU_DEP_1) | instskip(SKIP_2) | instid1(VALU_DEP_1)
	v_mad_co_u64_u32 v[5:6], null, s13, v77, v[3:4]
	v_mov_b32_e32 v1, v4
	s_lshl_b64 s[12:13], s[4:5], 2
	v_lshlrev_b64_e32 v[0:1], 2, v[0:1]
	s_delay_alu instid0(VALU_DEP_3) | instskip(NEXT) | instid1(VALU_DEP_2)
	v_mov_b32_e32 v3, v5
	v_add_co_u32 v0, vcc_lo, s10, v0
	s_delay_alu instid0(VALU_DEP_2) | instskip(NEXT) | instid1(VALU_DEP_4)
	v_lshlrev_b64_e32 v[2:3], 2, v[2:3]
	v_add_co_ci_u32_e32 v1, vcc_lo, s11, v1, vcc_lo
	s_delay_alu instid0(VALU_DEP_2) | instskip(SKIP_1) | instid1(VALU_DEP_2)
	v_add_co_u32 v0, vcc_lo, v0, v2
	s_wait_alu 0xfffd
	v_add_co_ci_u32_e32 v1, vcc_lo, v1, v3, vcc_lo
	s_wait_alu 0xfffe
	s_delay_alu instid0(VALU_DEP_2) | instskip(SKIP_1) | instid1(VALU_DEP_2)
	v_add_co_u32 v2, vcc_lo, v0, s12
	s_wait_alu 0xfffd
	v_add_co_ci_u32_e32 v3, vcc_lo, s13, v1, vcc_lo
	global_load_b32 v6, v[0:1], off
	v_add_co_u32 v0, vcc_lo, v2, s2
	s_wait_alu 0xfffd
	v_add_co_ci_u32_e32 v1, vcc_lo, s3, v3, vcc_lo
	global_load_b32 v8, v[2:3], off
	global_load_b32 v56, v55, s[16:17] offset:3024
	global_load_b32 v9, v[0:1], off
	v_add_co_u32 v0, vcc_lo, v0, s12
	s_wait_alu 0xfffd
	v_add_co_ci_u32_e32 v1, vcc_lo, s13, v1, vcc_lo
	s_delay_alu instid0(VALU_DEP_2) | instskip(SKIP_1) | instid1(VALU_DEP_2)
	v_add_co_u32 v2, vcc_lo, v0, s2
	s_wait_alu 0xfffd
	v_add_co_ci_u32_e32 v3, vcc_lo, s3, v1, vcc_lo
	s_clause 0x1
	global_load_b32 v10, v[0:1], off
	global_load_b32 v11, v[2:3], off
	v_add_co_u32 v0, vcc_lo, v2, s12
	s_wait_alu 0xfffd
	v_add_co_ci_u32_e32 v1, vcc_lo, s13, v3, vcc_lo
	s_delay_alu instid0(VALU_DEP_2) | instskip(SKIP_1) | instid1(VALU_DEP_2)
	v_add_co_u32 v2, vcc_lo, v0, s2
	s_wait_alu 0xfffd
	v_add_co_ci_u32_e32 v3, vcc_lo, s3, v1, vcc_lo
	global_load_b32 v13, v[0:1], off
	v_add_co_u32 v0, vcc_lo, v2, s12
	s_wait_alu 0xfffd
	v_add_co_ci_u32_e32 v1, vcc_lo, s13, v3, vcc_lo
	global_load_b32 v14, v[2:3], off
	global_load_b32 v15, v[0:1], off
	v_add_co_u32 v0, vcc_lo, v0, s2
	s_wait_alu 0xfffd
	v_add_co_ci_u32_e32 v1, vcc_lo, s3, v1, vcc_lo
	s_delay_alu instid0(VALU_DEP_2) | instskip(SKIP_1) | instid1(VALU_DEP_2)
	v_add_co_u32 v2, vcc_lo, v0, s12
	s_wait_alu 0xfffd
	v_add_co_ci_u32_e32 v3, vcc_lo, s13, v1, vcc_lo
	global_load_b32 v16, v[0:1], off
	v_add_co_u32 v0, vcc_lo, v2, s2
	s_wait_alu 0xfffd
	v_add_co_ci_u32_e32 v1, vcc_lo, s3, v3, vcc_lo
	global_load_b32 v17, v[2:3], off
	;; [unrolled: 4-line block ×3, first 2 shown]
	v_add_co_u32 v4, vcc_lo, v2, s2
	s_wait_alu 0xfffd
	v_add_co_ci_u32_e32 v5, vcc_lo, s3, v3, vcc_lo
	s_delay_alu instid0(VALU_DEP_2) | instskip(SKIP_1) | instid1(VALU_DEP_2)
	v_add_co_u32 v0, vcc_lo, v4, s12
	s_wait_alu 0xfffd
	v_add_co_ci_u32_e32 v1, vcc_lo, s13, v5, vcc_lo
	global_load_b32 v2, v[2:3], off
	global_load_b32 v3, v[4:5], off
	;; [unrolled: 1-line block ×3, first 2 shown]
	s_load_b64 s[4:5], s[0:1], 0x38
	s_load_b128 s[8:11], s[6:7], 0x0
	v_add_nc_u32_e32 v4, 0x600, v55
	v_add_co_u32 v24, s6, s16, v55
	s_delay_alu instid0(VALU_DEP_1)
	v_add_co_ci_u32_e64 v25, null, s17, 0, s6
	v_cmp_gt_u16_e32 vcc_lo, 28, v7
	s_wait_loadcnt 0x1b
	v_lshrrev_b32_e32 v84, 16, v80
	s_wait_loadcnt 0x1a
	v_lshrrev_b32_e32 v82, 16, v79
	;; [unrolled: 2-line block ×3, first 2 shown]
	v_lshrrev_b32_e32 v75, 16, v73
	s_wait_loadcnt 0x14
	v_lshrrev_b32_e32 v74, 16, v72
	v_lshrrev_b32_e32 v71, 16, v69
	s_wait_loadcnt 0x10
	v_lshrrev_b32_e32 v83, 16, v81
	v_lshrrev_b32_e32 v70, 16, v68
	;; [unrolled: 1-line block ×6, first 2 shown]
	s_wait_loadcnt 0xf
	v_lshrrev_b32_e32 v59, 16, v58
	s_wait_loadcnt 0xe
	v_lshrrev_b32_e32 v19, 16, v6
	v_mul_f16_e32 v20, v84, v6
	s_wait_loadcnt 0xd
	v_lshrrev_b32_e32 v22, 16, v8
	s_delay_alu instid0(VALU_DEP_3)
	v_mul_f16_e32 v21, v84, v19
	v_mul_f16_e32 v23, v83, v8
	v_fma_f16 v19, v80, v19, -v20
	s_wait_loadcnt 0xb
	v_lshrrev_b32_e32 v20, 16, v9
	v_lshrrev_b32_e32 v57, 16, v56
	v_fmac_f16_e32 v21, v80, v6
	v_mul_f16_e32 v6, v83, v22
	v_fma_f16 v22, v81, v22, -v23
	v_mul_f16_e32 v23, v82, v9
	s_delay_alu instid0(VALU_DEP_4) | instskip(NEXT) | instid1(VALU_DEP_4)
	v_pack_b32_f16 v19, v21, v19
	v_fmac_f16_e32 v6, v81, v8
	v_mul_f16_e32 v8, v82, v20
	s_wait_loadcnt 0xa
	v_lshrrev_b32_e32 v21, 16, v10
	v_mul_f16_e32 v27, v78, v10
	v_fma_f16 v20, v79, v20, -v23
	v_pack_b32_f16 v6, v6, v22
	v_fmac_f16_e32 v8, v79, v9
	v_mul_f16_e32 v9, v78, v21
	s_wait_loadcnt 0x9
	v_lshrrev_b32_e32 v22, 16, v11
	v_fma_f16 v21, v76, v21, -v27
	v_mul_f16_e32 v23, v75, v11
	ds_store_b32 v55, v6 offset:1680
	v_pack_b32_f16 v6, v8, v20
	v_fmac_f16_e32 v9, v76, v10
	v_mul_f16_e32 v8, v75, v22
	s_wait_loadcnt 0x8
	v_lshrrev_b32_e32 v20, 16, v13
	v_fma_f16 v10, v73, v22, -v23
	v_mul_f16_e32 v22, v74, v13
	ds_store_2addr_b32 v55, v19, v6 offset1:56
	v_pack_b32_f16 v6, v9, v21
	v_fmac_f16_e32 v8, v73, v11
	v_mul_f16_e32 v9, v74, v20
	s_wait_loadcnt 0x7
	v_lshrrev_b32_e32 v11, 16, v14
	v_fma_f16 v19, v72, v20, -v22
	v_mul_f16_e32 v20, v71, v14
	v_pack_b32_f16 v8, v8, v10
	v_fmac_f16_e32 v9, v72, v13
	v_mul_f16_e32 v10, v71, v11
	s_wait_loadcnt 0x6
	v_lshrrev_b32_e32 v13, 16, v15
	v_fma_f16 v11, v69, v11, -v20
	v_mul_f16_e32 v21, v70, v15
	v_pack_b32_f16 v9, v9, v19
	v_fmac_f16_e32 v10, v69, v14
	v_mul_f16_e32 v14, v70, v13
	s_wait_loadcnt 0x5
	v_lshrrev_b32_e32 v19, 16, v16
	v_fma_f16 v13, v68, v13, -v21
	ds_store_2addr_b32 v4, v6, v9 offset0:92 offset1:148
	v_pack_b32_f16 v6, v10, v11
	s_wait_loadcnt 0x4
	v_lshrrev_b32_e32 v11, 16, v17
	v_mul_f16_e32 v20, v67, v16
	v_fmac_f16_e32 v14, v68, v15
	v_mul_f16_e32 v9, v67, v19
	v_mul_f16_e32 v15, v65, v17
	ds_store_2addr_b32 v55, v8, v6 offset0:112 offset1:168
	v_mul_f16_e32 v8, v65, v11
	v_fma_f16 v10, v66, v19, -v20
	v_pack_b32_f16 v6, v14, v13
	v_fmac_f16_e32 v9, v66, v16
	s_wait_loadcnt 0x3
	v_lshrrev_b32_e32 v13, 16, v18
	v_mul_f16_e32 v14, v63, v18
	v_fma_f16 v11, v64, v11, -v15
	v_fmac_f16_e32 v8, v64, v17
	v_pack_b32_f16 v9, v9, v10
	v_mul_f16_e32 v10, v63, v13
	v_fma_f16 v13, v62, v13, -v14
	s_wait_loadcnt 0x2
	v_lshrrev_b32_e32 v14, 16, v2
	v_mul_f16_e32 v15, v61, v2
	v_pack_b32_f16 v8, v8, v11
	s_wait_loadcnt 0x1
	v_lshrrev_b32_e32 v11, 16, v3
	s_wait_loadcnt 0x0
	v_lshrrev_b32_e32 v16, 16, v5
	v_fmac_f16_e32 v10, v62, v18
	v_mul_f16_e32 v17, v61, v14
	v_fma_f16 v14, v60, v14, -v15
	v_mul_f16_e32 v15, v59, v3
	v_mul_f16_e32 v18, v59, v11
	;; [unrolled: 1-line block ×4, first 2 shown]
	v_fmac_f16_e32 v17, v60, v2
	v_fma_f16 v2, v58, v11, -v15
	v_fmac_f16_e32 v18, v58, v3
	v_fmac_f16_e32 v19, v56, v5
	v_fma_f16 v3, v56, v16, -v20
	v_add_nc_u32_e32 v5, 0x200, v55
	v_pack_b32_f16 v10, v10, v13
	v_pack_b32_f16 v2, v18, v2
	;; [unrolled: 1-line block ×4, first 2 shown]
	ds_store_2addr_b32 v12, v6, v8 offset0:76 offset1:132
	ds_store_2addr_b32 v5, v9, v10 offset0:96 offset1:152
	ds_store_b32 v55, v2 offset:1344
	ds_store_2addr_b32 v12, v11, v3 offset0:188 offset1:244
	s_and_saveexec_b32 s6, vcc_lo
	s_cbranch_execz .LBB0_3
; %bb.2:
	v_add_co_u32 v0, s2, v0, s2
	s_wait_alu 0xf1ff
	v_add_co_ci_u32_e64 v1, s2, s3, v1, s2
	s_delay_alu instid0(VALU_DEP_2) | instskip(SKIP_1) | instid1(VALU_DEP_2)
	v_add_co_u32 v2, s2, v0, s12
	s_wait_alu 0xf1ff
	v_add_co_ci_u32_e64 v3, s2, s13, v1, s2
	s_clause 0x1
	global_load_b32 v6, v[24:25], off offset:1568
	global_load_b32 v7, v[24:25], off offset:3248
	global_load_b32 v0, v[0:1], off
	global_load_b32 v1, v[2:3], off
	s_wait_loadcnt 0x3
	v_lshrrev_b32_e32 v2, 16, v6
	s_wait_loadcnt 0x2
	v_lshrrev_b32_e32 v3, 16, v7
	;; [unrolled: 2-line block ×4, first 2 shown]
	v_mul_f16_e32 v10, v2, v0
	s_delay_alu instid0(VALU_DEP_3) | instskip(NEXT) | instid1(VALU_DEP_3)
	v_mul_f16_e32 v2, v2, v8
	v_mul_f16_e32 v11, v3, v9
	;; [unrolled: 1-line block ×3, first 2 shown]
	s_delay_alu instid0(VALU_DEP_4) | instskip(NEXT) | instid1(VALU_DEP_4)
	v_fma_f16 v8, v6, v8, -v10
	v_fmac_f16_e32 v2, v6, v0
	s_delay_alu instid0(VALU_DEP_4) | instskip(NEXT) | instid1(VALU_DEP_4)
	v_fmac_f16_e32 v11, v7, v1
	v_fma_f16 v0, v7, v9, -v3
	s_delay_alu instid0(VALU_DEP_3) | instskip(NEXT) | instid1(VALU_DEP_2)
	v_pack_b32_f16 v1, v2, v8
	v_pack_b32_f16 v0, v11, v0
	ds_store_b32 v55, v1 offset:1568
	ds_store_b32 v55, v0 offset:3248
.LBB0_3:
	s_wait_alu 0xfffe
	s_or_b32 exec_lo, exec_lo, s6
	v_add_nc_u32_e32 v0, 0x400, v55
	global_wb scope:SCOPE_SE
	s_wait_dscnt 0x0
	s_wait_kmcnt 0x0
	s_barrier_signal -1
	s_barrier_wait -1
	global_inv scope:SCOPE_SE
	ds_load_2addr_b32 v[8:9], v55 offset1:56
	ds_load_2addr_b32 v[2:3], v0 offset0:80 offset1:164
	ds_load_2addr_b32 v[0:1], v4 offset0:92 offset1:148
	;; [unrolled: 1-line block ×6, first 2 shown]
                                        ; implicit-def: $vgpr14
                                        ; implicit-def: $vgpr15
	s_and_saveexec_b32 s2, vcc_lo
	s_cbranch_execz .LBB0_5
; %bb.4:
	ds_load_b32 v14, v55 offset:1568
	ds_load_b32 v15, v55 offset:3248
.LBB0_5:
	s_wait_alu 0xfffe
	s_or_b32 exec_lo, exec_lo, s2
	s_load_b64 s[2:3], s[0:1], 0x8
	v_add_co_u32 v16, s0, v77, 56
	s_wait_dscnt 0x5
	v_pk_add_f16 v21, v8, v3 neg_lo:[0,1] neg_hi:[0,1]
	s_wait_dscnt 0x4
	v_pk_add_f16 v23, v9, v0 neg_lo:[0,1] neg_hi:[0,1]
	s_wait_alu 0xf1ff
	v_add_co_ci_u32_e64 v17, null, 0, 0, s0
	v_add_co_u32 v29, s0, 0x70, v77
	v_lshlrev_b32_e32 v19, 1, v77
	s_wait_dscnt 0x3
	v_pk_add_f16 v31, v6, v1 neg_lo:[0,1] neg_hi:[0,1]
	s_wait_dscnt 0x0
	v_pk_add_f16 v1, v14, v15 neg_lo:[0,1] neg_hi:[0,1]
	v_pk_add_f16 v15, v4, v11 neg_lo:[0,1] neg_hi:[0,1]
	s_wait_alu 0xf1ff
	v_add_co_ci_u32_e64 v17, null, 0, 0, s0
	v_add_co_u32 v18, null, 0xa8, v77
	v_add_co_u32 v17, null, 0xe0, v77
	;; [unrolled: 1-line block ×3, first 2 shown]
	v_lshlrev_b32_e32 v90, 3, v77
	v_pk_fma_f16 v20, v8, 2.0, v21 op_sel_hi:[1,0,1] neg_lo:[0,0,1] neg_hi:[0,0,1]
	v_lshlrev_b32_e32 v92, 3, v16
	v_pk_fma_f16 v22, v9, 2.0, v23 op_sel_hi:[1,0,1] neg_lo:[0,0,1] neg_hi:[0,0,1]
	v_pk_add_f16 v10, v7, v10 neg_lo:[0,1] neg_hi:[0,1]
	v_pk_add_f16 v12, v5, v12 neg_lo:[0,1] neg_hi:[0,1]
	;; [unrolled: 1-line block ×3, first 2 shown]
	v_pk_fma_f16 v0, v14, 2.0, v1 op_sel_hi:[1,0,1] neg_lo:[0,0,1] neg_hi:[0,0,1]
	v_pk_fma_f16 v14, v4, 2.0, v15 op_sel_hi:[1,0,1] neg_lo:[0,0,1] neg_hi:[0,0,1]
	v_lshlrev_b32_e32 v4, 2, v19
	global_wb scope:SCOPE_SE
	s_wait_kmcnt 0x0
	s_barrier_signal -1
	s_barrier_wait -1
	global_inv scope:SCOPE_SE
	ds_store_b64 v90, v[20:21]
	v_lshlrev_b32_e32 v21, 1, v16
	ds_store_b64 v92, v[22:23]
	v_lshlrev_b32_e32 v20, 1, v29
	v_lshlrev_b32_e32 v89, 3, v29
	v_pk_fma_f16 v30, v6, 2.0, v31 op_sel_hi:[1,0,1] neg_lo:[0,0,1] neg_hi:[0,0,1]
	v_lshlrev_b32_e32 v22, 1, v18
	v_lshlrev_b32_e32 v91, 3, v18
	;; [unrolled: 1-line block ×4, first 2 shown]
	v_add_nc_u32_e32 v103, 0x230, v19
	v_add_nc_u32_e32 v104, 0x2a0, v19
	v_lshlrev_b32_e32 v94, 3, v27
	v_pk_fma_f16 v9, v7, 2.0, v10 op_sel_hi:[1,0,1] neg_lo:[0,0,1] neg_hi:[0,0,1]
	v_pk_fma_f16 v11, v5, 2.0, v12 op_sel_hi:[1,0,1] neg_lo:[0,0,1] neg_hi:[0,0,1]
	;; [unrolled: 1-line block ×3, first 2 shown]
	v_add_nc_u32_e32 v4, 0x800, v4
	ds_store_b64 v89, v[30:31]
	ds_store_b64 v91, v[9:10]
	;; [unrolled: 1-line block ×3, first 2 shown]
	ds_store_2addr_b64 v4, v[11:12], v[2:3] offset0:24 offset1:80
	s_and_saveexec_b32 s0, vcc_lo
	s_cbranch_execz .LBB0_7
; %bb.6:
	ds_store_b64 v94, v[0:1]
.LBB0_7:
	s_wait_alu 0xfffe
	s_or_b32 exec_lo, exec_lo, s0
	v_add_nc_u32_e32 v2, 0x400, v55
	v_add_nc_u32_e32 v6, 0x600, v55
	v_add_nc_u32_e32 v10, 0x800, v55
	v_add_nc_u32_e32 v7, 0x200, v55
	global_wb scope:SCOPE_SE
	s_wait_dscnt 0x0
	s_barrier_signal -1
	s_barrier_wait -1
	global_inv scope:SCOPE_SE
	ds_load_2addr_b32 v[4:5], v55 offset1:56
	ds_load_2addr_b32 v[2:3], v2 offset0:80 offset1:164
	ds_load_2addr_b32 v[14:15], v6 offset0:92 offset1:148
	ds_load_2addr_b32 v[8:9], v55 offset0:112 offset1:168
	ds_load_2addr_b32 v[12:13], v10 offset0:76 offset1:132
	ds_load_2addr_b32 v[6:7], v7 offset0:96 offset1:152
	ds_load_2addr_b32 v[10:11], v10 offset0:188 offset1:244
	s_and_saveexec_b32 s0, vcc_lo
	s_cbranch_execz .LBB0_9
; %bb.8:
	ds_load_b32 v0, v55 offset:1568
	ds_load_b32 v1, v55 offset:3248
.LBB0_9:
	s_wait_alu 0xfffe
	s_or_b32 exec_lo, exec_lo, s0
	v_and_b32_e32 v86, 1, v77
	v_lshlrev_b32_e32 v85, 1, v27
	s_wait_dscnt 0x4
	v_lshrrev_b32_e32 v32, 16, v14
	v_lshrrev_b32_e32 v34, 16, v15
	s_wait_dscnt 0x2
	v_lshrrev_b32_e32 v36, 16, v12
	v_lshlrev_b32_e32 v28, 2, v86
	v_and_or_b32 v27, 0x7c, v19, v86
	v_and_or_b32 v45, 0xfc, v21, v86
	;; [unrolled: 1-line block ×4, first 2 shown]
	global_load_b32 v87, v28, s[2:3]
	v_lshrrev_b32_e32 v28, 16, v3
	v_and_or_b32 v48, 0x3fc, v23, v86
	v_and_or_b32 v49, 0x2fc, v103, v86
	;; [unrolled: 1-line block ×3, first 2 shown]
	v_lshrrev_b32_e32 v38, 16, v13
	s_wait_dscnt 0x0
	v_lshrrev_b32_e32 v40, 16, v10
	v_lshrrev_b32_e32 v42, 16, v11
	;; [unrolled: 1-line block ×3, first 2 shown]
	v_lshlrev_b32_e32 v100, 2, v27
	v_lshlrev_b32_e32 v101, 2, v45
	;; [unrolled: 1-line block ×7, first 2 shown]
	v_lshrrev_b32_e32 v30, 16, v4
	v_lshrrev_b32_e32 v31, 16, v5
	;; [unrolled: 1-line block ×8, first 2 shown]
	global_wb scope:SCOPE_SE
	s_wait_loadcnt 0x0
	s_barrier_signal -1
	s_barrier_wait -1
	global_inv scope:SCOPE_SE
	v_lshrrev_b32_e32 v105, 16, v87
	s_delay_alu instid0(VALU_DEP_1)
	v_mul_f16_e32 v27, v28, v105
	v_mul_f16_e32 v45, v3, v105
	;; [unrolled: 1-line block ×16, first 2 shown]
	v_fma_f16 v3, v3, v87, -v27
	v_fmac_f16_e32 v45, v28, v87
	v_fma_f16 v14, v14, v87, -v46
	v_fmac_f16_e32 v47, v32, v87
	;; [unrolled: 2-line block ×8, first 2 shown]
	v_sub_f16_e32 v3, v4, v3
	v_sub_f16_e32 v32, v30, v45
	;; [unrolled: 1-line block ×16, first 2 shown]
	v_fma_f16 v1, v4, 2.0, -v3
	v_fma_f16 v4, v30, 2.0, -v32
	;; [unrolled: 1-line block ×16, first 2 shown]
	v_pack_b32_f16 v0, v3, v32
	v_pack_b32_f16 v1, v1, v4
	;; [unrolled: 1-line block ×14, first 2 shown]
	ds_store_2addr_b32 v100, v1, v0 offset1:2
	ds_store_2addr_b32 v101, v4, v3 offset1:2
	;; [unrolled: 1-line block ×7, first 2 shown]
	s_and_saveexec_b32 s0, vcc_lo
	s_cbranch_execz .LBB0_11
; %bb.10:
	v_and_or_b32 v0, 0x37c, v85, v86
	v_perm_b32 v1, v15, v14, 0x5040100
	v_perm_b32 v2, v28, v27, 0x5040100
	s_delay_alu instid0(VALU_DEP_3)
	v_lshlrev_b32_e32 v0, 2, v0
	ds_store_2addr_b32 v0, v1, v2 offset1:2
.LBB0_11:
	s_wait_alu 0xfffe
	s_or_b32 exec_lo, exec_lo, s0
	v_add_nc_u32_e32 v0, 0x400, v55
	v_add_nc_u32_e32 v4, 0x600, v55
	v_add_nc_u32_e32 v8, 0x800, v55
	v_add_nc_u32_e32 v5, 0x200, v55
	global_wb scope:SCOPE_SE
	s_wait_dscnt 0x0
	s_barrier_signal -1
	s_barrier_wait -1
	global_inv scope:SCOPE_SE
	ds_load_2addr_b32 v[2:3], v55 offset1:56
	ds_load_2addr_b32 v[0:1], v0 offset0:80 offset1:164
	ds_load_2addr_b32 v[12:13], v4 offset0:92 offset1:148
	;; [unrolled: 1-line block ×6, first 2 shown]
	s_and_saveexec_b32 s0, vcc_lo
	s_cbranch_execz .LBB0_13
; %bb.12:
	ds_load_b32 v14, v55 offset:1568
	ds_load_b32 v27, v55 offset:3248
	s_wait_dscnt 0x1
	v_lshrrev_b32_e32 v15, 16, v14
	s_wait_dscnt 0x0
	v_lshrrev_b32_e32 v28, 16, v27
.LBB0_13:
	s_wait_alu 0xfffe
	s_or_b32 exec_lo, exec_lo, s0
	v_and_b32_e32 v88, 3, v77
	s_wait_dscnt 0x5
	v_lshrrev_b32_e32 v31, 16, v1
	s_wait_dscnt 0x4
	v_lshrrev_b32_e32 v33, 16, v12
	v_lshrrev_b32_e32 v35, 16, v13
	s_wait_dscnt 0x2
	v_lshrrev_b32_e32 v36, 16, v10
	v_lshlrev_b32_e32 v30, 2, v88
	v_and_or_b32 v19, 0x78, v19, v88
	v_and_or_b32 v20, 0x1f8, v20, v88
	;; [unrolled: 1-line block ×4, first 2 shown]
	global_load_b32 v102, v30, s[2:3] offset:8
	v_and_or_b32 v23, 0x3f8, v23, v88
	v_and_or_b32 v44, 0x2f8, v103, v88
	;; [unrolled: 1-line block ×3, first 2 shown]
	v_lshrrev_b32_e32 v39, 16, v11
	s_wait_dscnt 0x0
	v_lshrrev_b32_e32 v41, 16, v8
	v_lshrrev_b32_e32 v43, 16, v9
	v_lshlrev_b32_e32 v111, 2, v19
	v_lshlrev_b32_e32 v106, 2, v20
	;; [unrolled: 1-line block ×7, first 2 shown]
	v_lshrrev_b32_e32 v30, 16, v2
	v_lshrrev_b32_e32 v32, 16, v3
	;; [unrolled: 1-line block ×7, first 2 shown]
	global_wb scope:SCOPE_SE
	s_wait_loadcnt 0x0
	s_barrier_signal -1
	s_barrier_wait -1
	global_inv scope:SCOPE_SE
	v_lshrrev_b32_e32 v113, 16, v102
	s_delay_alu instid0(VALU_DEP_1)
	v_mul_f16_e32 v19, v31, v113
	v_mul_f16_e32 v20, v1, v113
	;; [unrolled: 1-line block ×15, first 2 shown]
	v_fma_f16 v1, v1, v102, -v19
	v_fmac_f16_e32 v20, v31, v102
	v_fma_f16 v12, v12, v102, -v21
	v_fmac_f16_e32 v22, v33, v102
	;; [unrolled: 2-line block ×5, first 2 shown]
	v_mul_f16_e32 v54, v27, v113
	v_fma_f16 v8, v8, v102, -v49
	v_fmac_f16_e32 v50, v41, v102
	v_fma_f16 v9, v9, v102, -v51
	v_fmac_f16_e32 v52, v43, v102
	v_fma_f16 v19, v27, v102, -v53
	v_sub_f16_e32 v1, v2, v1
	v_sub_f16_e32 v20, v30, v20
	;; [unrolled: 1-line block ×10, first 2 shown]
	v_fmac_f16_e32 v54, v28, v102
	v_sub_f16_e32 v8, v5, v8
	v_sub_f16_e32 v28, v40, v50
	;; [unrolled: 1-line block ×5, first 2 shown]
	v_fma_f16 v2, v2, 2.0, -v1
	v_fma_f16 v19, v30, 2.0, -v20
	;; [unrolled: 1-line block ×10, first 2 shown]
	v_sub_f16_e64 v152, v15, v54
	v_fma_f16 v5, v5, 2.0, -v8
	v_fma_f16 v35, v40, 2.0, -v28
	;; [unrolled: 1-line block ×4, first 2 shown]
	v_pack_b32_f16 v1, v1, v20
	v_pack_b32_f16 v2, v2, v19
	;; [unrolled: 1-line block ×14, first 2 shown]
	ds_store_2addr_b32 v111, v2, v1 offset1:4
	ds_store_2addr_b32 v112, v3, v12 offset1:4
	;; [unrolled: 1-line block ×7, first 2 shown]
	s_and_saveexec_b32 s0, vcc_lo
	s_cbranch_execz .LBB0_15
; %bb.14:
	v_fma_f16 v0, v14, 2.0, -v36
	v_and_or_b32 v1, 0x378, v85, v88
	v_fma_f16 v2, v15, 2.0, -v152
	s_delay_alu instid0(VALU_DEP_2) | instskip(NEXT) | instid1(VALU_DEP_2)
	v_lshlrev_b32_e32 v1, 2, v1
	v_pack_b32_f16 v0, v0, v2
	v_perm_b32 v2, v152, v36, 0x5040100
	ds_store_2addr_b32 v1, v0, v2 offset1:4
.LBB0_15:
	s_wait_alu 0xfffe
	s_or_b32 exec_lo, exec_lo, s0
	v_and_b32_e32 v15, 7, v77
	global_wb scope:SCOPE_SE
	s_wait_dscnt 0x0
	s_barrier_signal -1
	s_barrier_wait -1
	global_inv scope:SCOPE_SE
	v_lshlrev_b32_e32 v0, 3, v15
	v_add_nc_u32_e32 v2, 0x200, v55
	v_add_nc_u32_e32 v1, 0x400, v55
	v_lshrrev_b32_e32 v20, 3, v77
	v_lshrrev_b32_e32 v21, 3, v16
	global_load_b64 v[27:28], v0, s[2:3] offset:24
	v_add_nc_u32_e32 v0, 0x800, v55
	v_lshrrev_b32_e32 v22, 3, v29
	v_lshrrev_b32_e32 v23, 3, v18
	;; [unrolled: 1-line block ×3, first 2 shown]
	v_and_b32_e32 v31, 0xff, v77
	v_and_b32_e32 v32, 0xff, v16
	;; [unrolled: 1-line block ×3, first 2 shown]
	ds_load_2addr_b32 v[3:4], v55 offset1:56
	ds_load_2addr_b32 v[5:6], v55 offset0:112 offset1:168
	ds_load_b32 v19, v55 offset:3136
	ds_load_2addr_b32 v[7:8], v2 offset0:96 offset1:152
	ds_load_2addr_b32 v[9:10], v0 offset0:48 offset1:104
	;; [unrolled: 1-line block ×5, first 2 shown]
	v_mul_u32_u24_e32 v20, 24, v20
	v_mul_u32_u24_e32 v21, 24, v21
	;; [unrolled: 1-line block ×5, first 2 shown]
	v_mul_lo_u16 v31, 0xab, v31
	v_mul_lo_u16 v32, 0xab, v32
	;; [unrolled: 1-line block ×3, first 2 shown]
	v_or_b32_e32 v20, v20, v15
	v_or_b32_e32 v21, v21, v15
	;; [unrolled: 1-line block ×5, first 2 shown]
	v_lshrrev_b16 v30, 12, v31
	v_lshrrev_b16 v31, 12, v32
	;; [unrolled: 1-line block ×3, first 2 shown]
	v_lshlrev_b32_e32 v121, 2, v20
	v_lshlrev_b32_e32 v120, 2, v21
	s_wait_dscnt 0x3
	v_lshrrev_b32_e32 v37, 16, v9
	v_mul_lo_u16 v20, v31, 24
	v_mul_lo_u16 v21, v32, 24
	s_wait_dscnt 0x2
	v_lshrrev_b32_e32 v38, 16, v11
	v_lshrrev_b32_e32 v39, 16, v10
	;; [unrolled: 1-line block ×3, first 2 shown]
	v_sub_nc_u16 v16, v16, v20
	v_sub_nc_u16 v20, v29, v21
	v_lshrrev_b32_e32 v21, 16, v8
	s_wait_dscnt 0x1
	v_lshrrev_b32_e32 v41, 16, v13
	s_wait_dscnt 0x0
	v_lshrrev_b32_e32 v42, 16, v17
	v_lshrrev_b32_e32 v43, 16, v14
	;; [unrolled: 1-line block ×4, first 2 shown]
	v_and_b32_e32 v48, 0xff, v20
	v_lshlrev_b32_e32 v118, 2, v22
	v_lshlrev_b32_e32 v117, 2, v23
	v_lshrrev_b32_e32 v22, 16, v3
	v_lshrrev_b32_e32 v23, 16, v4
	v_lshlrev_b32_e32 v116, 2, v15
	v_mul_lo_u16 v15, v30, 24
	v_lshrrev_b32_e32 v33, 16, v5
	v_lshrrev_b32_e32 v34, 16, v6
	;; [unrolled: 1-line block ×3, first 2 shown]
	v_and_b32_e32 v47, 0xff, v16
	v_sub_nc_u16 v15, v77, v15
	global_wb scope:SCOPE_SE
	s_wait_loadcnt 0x0
	s_barrier_signal -1
	s_barrier_wait -1
	v_lshlrev_b32_e32 v16, 4, v47
	v_and_b32_e32 v46, 0xff, v15
	global_inv scope:SCOPE_SE
	v_cmp_gt_u16_e64 s0, 8, v77
	v_lshlrev_b32_e32 v15, 4, v46
	v_lshrrev_b32_e32 v127, 16, v27
	v_lshrrev_b32_e32 v126, 16, v28
	s_delay_alu instid0(VALU_DEP_2) | instskip(SKIP_1) | instid1(VALU_DEP_3)
	v_mul_f16_e32 v20, v21, v127
	v_mul_f16_e32 v49, v8, v127
	;; [unrolled: 1-line block ×14, first 2 shown]
	v_mul_f16_e64 v128, v43, v126
	v_mul_f16_e64 v129, v14, v126
	;; [unrolled: 1-line block ×6, first 2 shown]
	v_fma_f16 v8, v8, v27, -v20
	v_fmac_f16_e32 v49, v21, v27
	v_fma_f16 v9, v9, v28, -v50
	v_fmac_f16_e32 v51, v37, v28
	;; [unrolled: 2-line block ×7, first 2 shown]
	v_fma_f16 v14, v14, v28, -v128
	v_fmac_f16_e64 v129, v43, v28
	v_fma_f16 v18, v18, v27, -v130
	v_fmac_f16_e64 v131, v45, v27
	;; [unrolled: 2-line block ×3, first 2 shown]
	v_add_f16_e32 v21, v8, v9
	v_add_f16_e32 v38, v49, v51
	;; [unrolled: 1-line block ×4, first 2 shown]
	v_sub_f16_e32 v35, v49, v51
	v_add_f16_e32 v37, v22, v49
	v_sub_f16_e32 v41, v53, v114
	v_add_f16_e32 v42, v23, v53
	v_add_f16_e32 v49, v12, v13
	;; [unrolled: 1-line block ×4, first 2 shown]
	v_add_f16_e64 v124, v125, v129
	v_add_f16_e32 v20, v3, v8
	v_sub_f16_e32 v8, v8, v9
	v_add_f16_e32 v39, v4, v11
	v_sub_f16_e32 v50, v119, v123
	v_add_f16_e32 v52, v33, v119
	v_sub_f16_e64 v119, v125, v129
	v_add_f16_e32 v122, v34, v125
	v_add_f16_e32 v125, v7, v18
	v_add_f16_e64 v128, v18, v19
	v_sub_f16_e64 v130, v131, v133
	v_add_f16_e64 v132, v44, v131
	v_add_f16_e64 v131, v131, v133
	v_fma_f16 v3, -0.5, v21, v3
	v_fmac_f16_e32 v22, -0.5, v38
	v_sub_f16_e32 v11, v11, v10
	v_fmac_f16_e32 v4, -0.5, v40
	v_fmac_f16_e32 v23, -0.5, v43
	v_add_f16_e32 v45, v5, v12
	v_sub_f16_e32 v12, v12, v13
	v_add_f16_e32 v54, v6, v17
	v_sub_f16_e32 v17, v17, v14
	v_fma_f16 v5, -0.5, v49, v5
	v_fmac_f16_e32 v33, -0.5, v53
	v_fmac_f16_e32 v6, -0.5, v115
	v_fmac_f16_e32 v34, -0.5, v124
	v_sub_f16_e32 v18, v18, v19
	v_add_f16_e32 v9, v20, v9
	v_add_f16_e32 v20, v37, v51
	;; [unrolled: 1-line block ×4, first 2 shown]
	v_fmac_f16_e64 v7, -0.5, v128
	v_add_f16_e64 v39, v132, v133
	v_fmac_f16_e64 v44, -0.5, v131
	v_fmamk_f16 v40, v35, 0x3aee, v3
	v_fmac_f16_e32 v3, 0xbaee, v35
	v_fmamk_f16 v35, v8, 0xbaee, v22
	v_fmac_f16_e32 v22, 0x3aee, v8
	v_add_f16_e32 v21, v42, v114
	v_fmamk_f16 v8, v41, 0x3aee, v4
	v_fmac_f16_e32 v4, 0xbaee, v41
	v_fmamk_f16 v41, v11, 0xbaee, v23
	v_fmac_f16_e32 v23, 0x3aee, v11
	v_add_f16_e32 v13, v45, v13
	v_add_f16_e32 v37, v52, v123
	;; [unrolled: 1-line block ×3, first 2 shown]
	v_add_f16_e64 v38, v122, v129
	v_fmamk_f16 v11, v50, 0x3aee, v5
	v_fmamk_f16 v42, v12, 0xbaee, v33
	v_fmac_f16_e32 v33, 0x3aee, v12
	v_fmamk_f16 v12, v119, 0x3aee, v6
	v_fmamk_f16 v43, v17, 0xbaee, v34
	v_fmac_f16_e32 v5, 0xbaee, v50
	v_fmac_f16_e32 v6, 0xbaee, v119
	;; [unrolled: 1-line block ×3, first 2 shown]
	v_fma_f16 v17, 0x3aee, v130, v7
	v_fmac_f16_e64 v7, 0xbaee, v130
	v_fmamk_f16 v45, v18, 0xbaee, v44
	v_fmac_f16_e32 v44, 0x3aee, v18
	v_pack_b32_f16 v9, v9, v20
	v_pack_b32_f16 v18, v19, v39
	;; [unrolled: 1-line block ×15, first 2 shown]
	ds_store_2addr_b32 v121, v9, v19 offset1:8
	ds_store_b32 v121, v3 offset:64
	ds_store_2addr_b32 v120, v10, v8 offset1:8
	ds_store_b32 v120, v4 offset:64
	;; [unrolled: 2-line block ×5, first 2 shown]
	global_wb scope:SCOPE_SE
	s_wait_dscnt 0x0
	s_barrier_signal -1
	s_barrier_wait -1
	global_inv scope:SCOPE_SE
	global_load_b128 v[12:15], v15, s[2:3] offset:88
	v_lshlrev_b32_e32 v3, 4, v48
	s_clause 0x1
	global_load_b128 v[8:11], v16, s[2:3] offset:88
	global_load_b128 v[4:7], v3, s[2:3] offset:88
	v_and_b32_e32 v3, 0xffff, v30
	v_and_b32_e32 v34, 0xffff, v31
	ds_load_2addr_b32 v[16:17], v55 offset1:56
	ds_load_2addr_b32 v[18:19], v55 offset0:112 offset1:168
	ds_load_2addr_b32 v[20:21], v1 offset0:80 offset1:136
	ds_load_2addr_b32 v[22:23], v1 offset0:192 offset1:248
	ds_load_2addr_b32 v[30:31], v0 offset0:160 offset1:216
	v_and_b32_e32 v37, 0xffff, v32
	ds_load_2addr_b32 v[32:33], v2 offset0:96 offset1:152
	v_mul_u32_u24_e32 v3, 0x78, v3
	v_mul_u32_u24_e32 v38, 0x78, v34
	ds_load_2addr_b32 v[34:35], v0 offset0:48 offset1:104
	v_mul_u32_u24_e32 v37, 0x78, v37
	v_add_nc_u32_e32 v39, 0x600, v55
	v_add_lshl_u32 v119, v3, v46, 2
	ds_load_b32 v3, v55 offset:3136
	v_add_lshl_u32 v115, v38, v47, 2
	v_add_lshl_u32 v114, v37, v48, 2
	v_add_nc_u32_e32 v40, 0xa00, v55
	global_wb scope:SCOPE_SE
	s_wait_loadcnt_dscnt 0x0
	s_barrier_signal -1
	s_barrier_wait -1
	v_lshrrev_b32_e32 v37, 16, v16
	v_lshrrev_b32_e32 v38, 16, v19
	;; [unrolled: 1-line block ×15, first 2 shown]
	global_inv scope:SCOPE_SE
	v_lshrrev_b32_e32 v151, 16, v12
	v_lshrrev_b32_e32 v150, 16, v13
	;; [unrolled: 1-line block ×12, first 2 shown]
	v_mul_f16_e64 v54, v38, v151
	v_mul_f16_e64 v122, v19, v151
	;; [unrolled: 1-line block ×24, first 2 shown]
	v_fma_f16 v19, v19, v12, -v54
	v_fmac_f16_e32 v122, v38, v12
	v_fma_f16 v20, v20, v13, -v123
	v_fmac_f16_e32 v124, v41, v13
	v_fma_f16 v23, v23, v14, -v125
	v_fmac_f16_e64 v128, v42, v14
	v_fma_f16 v30, v30, v15, -v129
	v_fmac_f16_e64 v130, v43, v15
	;; [unrolled: 2-line block ×10, first 2 shown]
	v_add_f16_e32 v35, v16, v19
	v_add_f16_e32 v41, v20, v23
	v_sub_f16_e32 v45, v19, v20
	v_sub_f16_e32 v46, v30, v23
	;; [unrolled: 1-line block ×4, first 2 shown]
	v_add_f16_e32 v51, v37, v122
	v_add_f16_e64 v52, v124, v128
	v_add_f16_e32 v47, v19, v30
	v_add_f16_e64 v125, v122, v130
	v_sub_f16_e32 v54, v122, v124
	v_sub_f16_e64 v123, v130, v128
	v_add_f16_e64 v131, v17, v32
	v_add_f16_e64 v133, v21, v34
	;; [unrolled: 1-line block ×10, first 2 shown]
	v_sub_f16_e64 v42, v122, v130
	v_sub_f16_e32 v19, v19, v30
	v_sub_f16_e32 v53, v20, v23
	v_add_f16_e64 v174, v33, v3
	v_add_f16_e64 v182, v153, v159
	v_add_f16_e32 v20, v35, v20
	v_add_f16_e32 v45, v45, v46
	;; [unrolled: 1-line block ×4, first 2 shown]
	v_fma_f16 v51, -0.5, v52, v37
	v_fma_f16 v41, -0.5, v41, v16
	v_sub_f16_e64 v43, v124, v128
	v_sub_f16_e64 v140, v32, v21
	v_sub_f16_e64 v154, v31, v34
	v_fmac_f16_e32 v37, -0.5, v125
	v_fma_f16 v16, -0.5, v47, v16
	v_sub_f16_e32 v122, v124, v122
	v_sub_f16_e64 v135, v132, v139
	v_sub_f16_e64 v158, v21, v32
	v_sub_f16_e32 v32, v32, v31
	v_sub_f16_e64 v163, v21, v34
	v_add_f16_e32 v50, v54, v123
	v_add_f16_e64 v21, v131, v21
	v_fma_f16 v47, -0.5, v133, v17
	v_add_f16_e64 v123, v161, v134
	v_fma_f16 v124, -0.5, v162, v44
	v_sub_f16_e64 v129, v128, v130
	v_sub_f16_e64 v138, v134, v137
	;; [unrolled: 1-line block ×6, first 2 shown]
	v_sub_f16_e32 v33, v33, v3
	v_sub_f16_e64 v179, v22, v38
	v_sub_f16_e64 v180, v153, v155
	;; [unrolled: 1-line block ×3, first 2 shown]
	v_fmac_f16_e64 v17, -0.5, v156
	v_fmac_f16_e64 v44, -0.5, v166
	v_add_f16_e64 v22, v168, v22
	v_fma_f16 v35, -0.5, v169, v18
	v_add_f16_e64 v133, v177, v155
	v_fma_f16 v153, -0.5, v178, v49
	v_sub_f16_e64 v171, v155, v157
	v_fmac_f16_e64 v18, -0.5, v174
	v_fmac_f16_e64 v49, -0.5, v182
	v_add_f16_e32 v20, v20, v23
	v_fmamk_f16 v23, v42, 0x3b9c, v41
	v_add_f16_e64 v48, v48, v128
	v_fma_f16 v128, 0xbb9c, v19, v51
	v_add_f16_e64 v54, v140, v154
	v_fma_f16 v154, 0xbb9c, v43, v16
	v_fmac_f16_e32 v16, 0x3b9c, v43
	v_fma_f16 v155, 0x3b9c, v53, v37
	v_fmac_f16_e32 v37, 0xbb9c, v53
	v_fmac_f16_e32 v41, 0xbb9c, v42
	;; [unrolled: 1-line block ×3, first 2 shown]
	v_sub_f16_e64 v164, v132, v134
	v_sub_f16_e64 v165, v139, v137
	;; [unrolled: 1-line block ×3, first 2 shown]
	v_add_f16_e32 v21, v21, v34
	v_fma_f16 v34, 0x3b9c, v135, v47
	v_add_f16_e64 v123, v123, v137
	v_fma_f16 v137, 0xbb9c, v32, v124
	v_sub_f16_e64 v132, v134, v132
	v_sub_f16_e64 v173, v3, v38
	;; [unrolled: 1-line block ×5, first 2 shown]
	v_add_f16_e64 v52, v122, v129
	v_add_f16_e64 v122, v158, v160
	v_fma_f16 v156, 0xbb9c, v138, v17
	v_fmac_f16_e64 v17, 0x3b9c, v138
	v_fma_f16 v158, 0x3b9c, v163, v44
	v_fmac_f16_e64 v44, 0xbb9c, v163
	v_add_f16_e32 v22, v22, v38
	v_fma_f16 v38, 0x3b9c, v170, v35
	v_fmac_f16_e64 v35, 0xbb9c, v170
	v_add_f16_e64 v133, v133, v157
	v_fma_f16 v157, 0xbb9c, v33, v153
	v_fmac_f16_e64 v153, 0x3b9c, v33
	v_fmac_f16_e64 v47, 0xbb9c, v135
	v_fmac_f16_e32 v124, 0x3b9c, v32
	v_fma_f16 v160, 0xbb9c, v171, v18
	v_fmac_f16_e64 v18, 0x3b9c, v171
	v_fma_f16 v161, 0x3b9c, v179, v49
	v_fmac_f16_e64 v49, 0xbb9c, v179
	v_fmac_f16_e32 v23, 0x38b4, v43
	v_fmac_f16_e64 v128, 0xb8b4, v53
	v_fmac_f16_e64 v154, 0x38b4, v42
	v_fmac_f16_e32 v16, 0xb8b4, v42
	v_fmac_f16_e64 v155, 0xb8b4, v19
	v_fmac_f16_e32 v37, 0x38b4, v19
	v_fmac_f16_e32 v41, 0xb8b4, v43
	;; [unrolled: 1-line block ×3, first 2 shown]
	v_add_f16_e64 v125, v164, v165
	v_fmac_f16_e64 v34, 0x38b4, v138
	v_fmac_f16_e64 v137, 0xb8b4, v163
	v_add_f16_e64 v129, v132, v167
	v_add_f16_e64 v131, v172, v173
	;; [unrolled: 1-line block ×3, first 2 shown]
	v_fmac_f16_e64 v156, 0x38b4, v135
	v_fmac_f16_e64 v17, 0xb8b4, v135
	;; [unrolled: 1-line block ×3, first 2 shown]
	v_fmac_f16_e32 v44, 0x38b4, v32
	v_fmac_f16_e64 v35, 0xb8b4, v171
	v_fmac_f16_e64 v153, 0x38b4, v179
	v_add_f16_e64 v132, v175, v176
	v_add_f16_e64 v140, v183, v184
	v_add_f16_e32 v20, v20, v30
	v_add_f16_e64 v30, v48, v130
	v_add_f16_e32 v19, v21, v31
	v_fmac_f16_e64 v47, 0xb8b4, v138
	v_add_f16_e64 v21, v123, v139
	v_fmac_f16_e64 v124, 0x38b4, v163
	v_fmac_f16_e64 v38, 0x38b4, v171
	;; [unrolled: 1-line block ×6, first 2 shown]
	v_fmac_f16_e32 v49, 0x38b4, v33
	v_fmac_f16_e32 v23, 0x34f2, v45
	v_fmac_f16_e64 v128, 0x34f2, v50
	v_add_f16_e32 v3, v22, v3
	v_add_f16_e64 v22, v133, v159
	v_fmac_f16_e64 v154, 0x34f2, v46
	v_fmac_f16_e32 v16, 0x34f2, v46
	v_fmac_f16_e64 v155, 0x34f2, v52
	v_fmac_f16_e32 v37, 0x34f2, v52
	v_fmac_f16_e32 v41, 0x34f2, v45
	v_fmac_f16_e32 v51, 0x34f2, v50
	v_fmac_f16_e32 v34, 0x34f2, v54
	v_fmac_f16_e64 v137, 0x34f2, v125
	v_fmac_f16_e64 v156, 0x34f2, v122
	v_fmac_f16_e32 v17, 0x34f2, v122
	v_fmac_f16_e64 v158, 0x34f2, v129
	v_fmac_f16_e64 v44, 0x34f2, v129
	;; [unrolled: 1-line block ×4, first 2 shown]
	v_fmac_f16_e32 v47, 0x34f2, v54
	v_fmac_f16_e32 v124, 0x34f2, v125
	v_fmac_f16_e64 v38, 0x34f2, v131
	v_fmac_f16_e64 v160, 0x34f2, v132
	;; [unrolled: 1-line block ×6, first 2 shown]
	v_pack_b32_f16 v20, v20, v30
	v_pack_b32_f16 v19, v19, v21
	v_pack_b32_f16 v21, v23, v128
	v_pack_b32_f16 v3, v3, v22
	v_pack_b32_f16 v22, v154, v155
	v_pack_b32_f16 v16, v16, v37
	v_pack_b32_f16 v23, v41, v51
	v_pack_b32_f16 v30, v34, v137
	v_pack_b32_f16 v31, v156, v158
	v_pack_b32_f16 v17, v17, v44
	v_pack_b32_f16 v37, v35, v153
	v_pack_b32_f16 v32, v47, v124
	v_pack_b32_f16 v33, v38, v157
	v_pack_b32_f16 v34, v160, v161
	v_pack_b32_f16 v18, v18, v49
	ds_store_2addr_b32 v119, v20, v21 offset1:24
	ds_store_2addr_b32 v119, v22, v16 offset0:48 offset1:72
	ds_store_b32 v119, v23 offset:384
	ds_store_2addr_b32 v115, v19, v30 offset1:24
	ds_store_2addr_b32 v115, v31, v17 offset0:48 offset1:72
	ds_store_b32 v115, v32 offset:384
	;; [unrolled: 3-line block ×3, first 2 shown]
	global_wb scope:SCOPE_SE
	s_wait_dscnt 0x0
	s_barrier_signal -1
	s_barrier_wait -1
	global_inv scope:SCOPE_SE
	ds_load_2addr_b32 v[37:38], v55 offset1:56
	ds_load_2addr_b32 v[53:54], v55 offset0:120 offset1:176
	ds_load_2addr_b32 v[51:52], v2 offset0:112 offset1:168
	;; [unrolled: 1-line block ×6, first 2 shown]
                                        ; implicit-def: $vgpr40
                                        ; implicit-def: $vgpr155
                                        ; implicit-def: $vgpr42
                                        ; implicit-def: $vgpr156
                                        ; implicit-def: $vgpr154
                                        ; implicit-def: $vgpr157
                                        ; implicit-def: $vgpr158
                                        ; implicit-def: $vgpr159
	s_and_saveexec_b32 s1, s0
	s_cbranch_execz .LBB0_17
; %bb.16:
	ds_load_2addr_b32 v[35:36], v55 offset0:112 offset1:232
	ds_load_2addr_b32 v[39:40], v1 offset0:96 offset1:216
	;; [unrolled: 1-line block ×3, first 2 shown]
	ds_load_b32 v154, v55 offset:3328
	s_wait_dscnt 0x3
	v_lshrrev_b32_e32 v153, 16, v35
	v_lshrrev_b32_e32 v152, 16, v36
	s_wait_dscnt 0x2
	v_lshrrev_b32_e32 v159, 16, v39
	v_lshrrev_b32_e32 v155, 16, v40
	;; [unrolled: 3-line block ×3, first 2 shown]
	s_wait_dscnt 0x0
	v_lshrrev_b32_e32 v157, 16, v154
.LBB0_17:
	s_wait_alu 0xfffe
	s_or_b32 exec_lo, exec_lo, s1
	v_mad_co_u64_u32 v[0:1], null, v77, 24, s[2:3]
	s_wait_dscnt 0x5
	v_lshrrev_b32_e32 v122, 16, v53
	s_wait_dscnt 0x4
	v_lshrrev_b32_e32 v123, 16, v51
	;; [unrolled: 2-line block ×6, first 2 shown]
	s_clause 0x3
	global_load_b128 v[20:23], v[0:1], off offset:472
	global_load_b64 v[31:32], v[0:1], off offset:488
	global_load_b128 v[16:19], v[0:1], off offset:1816
	global_load_b64 v[33:34], v[0:1], off offset:1832
	v_add_nc_u32_e32 v0, -8, v77
	v_lshrrev_b32_e32 v164, 16, v54
	v_lshrrev_b32_e32 v165, 16, v52
	;; [unrolled: 1-line block ×4, first 2 shown]
	v_cndmask_b32_e64 v0, v0, v29, s0
	v_lshrrev_b32_e32 v168, 16, v46
	v_lshrrev_b32_e32 v169, 16, v44
	;; [unrolled: 1-line block ×4, first 2 shown]
	v_mul_i32_i24_e32 v1, 24, v0
	v_mul_hi_i32_i24_e32 v0, 24, v0
	s_delay_alu instid0(VALU_DEP_2) | instskip(SKIP_1) | instid1(VALU_DEP_2)
	v_add_co_u32 v29, s1, s2, v1
	s_wait_alu 0xf1ff
	v_add_co_ci_u32_e64 v30, s1, s3, v0, s1
	s_clause 0x1
	global_load_b128 v[0:3], v[29:30], off offset:472
	global_load_b64 v[29:30], v[29:30], off offset:488
	s_wait_loadcnt 0x5
	v_lshrrev_b32_e32 v140, 16, v20
	v_lshrrev_b32_e32 v139, 16, v21
	;; [unrolled: 1-line block ×4, first 2 shown]
	s_wait_loadcnt 0x4
	v_lshrrev_b32_e32 v135, 16, v31
	v_lshrrev_b32_e32 v134, 16, v32
	s_wait_loadcnt 0x3
	v_lshrrev_b32_e32 v133, 16, v16
	v_lshrrev_b32_e32 v132, 16, v17
	;; [unrolled: 1-line block ×4, first 2 shown]
	s_wait_loadcnt 0x2
	v_lshrrev_b32_e32 v129, 16, v33
	v_lshrrev_b32_e32 v128, 16, v34
	v_mul_f16_e64 v170, v122, v140
	v_mul_f16_e64 v171, v53, v140
	;; [unrolled: 1-line block ×24, first 2 shown]
	v_fma_f16 v170, v53, v20, -v170
	v_fmac_f16_e64 v171, v122, v20
	v_fma_f16 v51, v51, v21, -v172
	v_fmac_f16_e64 v173, v123, v21
	;; [unrolled: 2-line block ×12, first 2 shown]
	s_wait_loadcnt 0x1
	v_lshrrev_b32_e32 v124, 16, v0
	v_lshrrev_b32_e32 v122, 16, v1
	s_wait_loadcnt 0x0
	v_lshrrev_b32_e32 v123, 16, v29
	v_lshrrev_b32_e32 v125, 16, v30
	v_lshrrev_b32_e32 v53, 16, v2
	v_lshrrev_b32_e32 v54, 16, v3
	v_add_f16_e64 v162, v170, v43
	v_add_f16_e64 v164, v171, v181
	v_sub_f16_e64 v43, v170, v43
	v_sub_f16_e64 v165, v171, v181
	v_add_f16_e64 v166, v51, v45
	v_add_f16_e64 v167, v173, v179
	v_sub_f16_e32 v45, v51, v45
	v_sub_f16_e64 v51, v173, v179
	v_add_f16_e64 v168, v49, v47
	v_add_f16_e64 v169, v175, v177
	v_sub_f16_e32 v47, v47, v49
	v_sub_f16_e64 v49, v177, v175
	v_add_f16_e64 v170, v161, v44
	v_add_f16_e64 v171, v183, v193
	v_sub_f16_e64 v44, v161, v44
	v_add_f16_e64 v172, v52, v46
	v_add_f16_e64 v173, v185, v191
	v_sub_f16_e32 v46, v52, v46
	v_sub_f16_e64 v52, v185, v191
	v_add_f16_e64 v174, v50, v48
	v_add_f16_e64 v175, v187, v189
	v_sub_f16_e32 v48, v48, v50
	v_sub_f16_e64 v50, v189, v187
	v_mul_f16_e64 v176, v152, v124
	v_mul_f16_e64 v177, v36, v124
	;; [unrolled: 1-line block ×8, first 2 shown]
	v_sub_f16_e64 v161, v183, v193
	v_mul_f16_e64 v180, v155, v53
	v_mul_f16_e64 v181, v40, v53
	;; [unrolled: 1-line block ×4, first 2 shown]
	v_add_f16_e64 v188, v166, v162
	v_add_f16_e64 v189, v167, v164
	v_sub_f16_e64 v191, v167, v164
	v_sub_f16_e64 v164, v164, v169
	v_add_f16_e64 v192, v47, v45
	v_add_f16_e64 v193, v49, v51
	v_sub_f16_e64 v194, v47, v45
	v_sub_f16_e64 v195, v49, v51
	v_sub_f16_e32 v45, v45, v43
	v_sub_f16_e64 v51, v51, v165
	v_add_f16_e64 v196, v172, v170
	v_add_f16_e64 v197, v173, v171
	v_sub_f16_e64 v198, v172, v170
	v_sub_f16_e64 v199, v173, v171
	;; [unrolled: 1-line block ×5, first 2 shown]
	v_add_f16_e64 v200, v48, v46
	v_sub_f16_e64 v202, v48, v46
	v_sub_f16_e32 v46, v46, v44
	v_fma_f16 v36, v36, v0, -v176
	v_fmac_f16_e64 v177, v152, v0
	v_fma_f16 v39, v39, v1, -v178
	v_fmac_f16_e64 v179, v159, v1
	;; [unrolled: 2-line block ×4, first 2 shown]
	v_sub_f16_e64 v190, v166, v162
	v_sub_f16_e64 v162, v162, v168
	;; [unrolled: 1-line block ×4, first 2 shown]
	v_sub_f16_e32 v47, v43, v47
	v_sub_f16_e64 v49, v165, v49
	v_sub_f16_e64 v171, v171, v175
	v_add_f16_e64 v201, v50, v52
	v_sub_f16_e64 v203, v50, v52
	v_sub_f16_e32 v48, v44, v48
	v_sub_f16_e64 v52, v52, v161
	v_fma_f16 v40, v40, v2, -v180
	v_fmac_f16_e64 v181, v155, v2
	v_fma_f16 v41, v41, v3, -v182
	v_fmac_f16_e64 v183, v158, v3
	v_add_f16_e64 v154, v168, v188
	v_add_f16_e64 v155, v169, v189
	;; [unrolled: 1-line block ×3, first 2 shown]
	v_mul_f16_e64 v158, 0x3a52, v164
	v_mul_f16_e64 v164, 0xb846, v194
	;; [unrolled: 1-line block ×5, first 2 shown]
	v_add_f16_e64 v174, v174, v196
	v_add_f16_e64 v175, v175, v197
	v_mul_f16_e64 v170, 0x3a52, v170
	v_mul_f16_e64 v176, 0x2b26, v172
	;; [unrolled: 1-line block ×5, first 2 shown]
	v_add_f16_e64 v188, v36, v152
	v_add_f16_e64 v189, v177, v187
	v_sub_f16_e64 v36, v36, v152
	v_sub_f16_e64 v152, v177, v187
	v_add_f16_e64 v177, v39, v42
	v_add_f16_e64 v187, v179, v185
	v_sub_f16_e64 v50, v161, v50
	v_add_f16_e64 v43, v192, v43
	v_mul_f16_e64 v157, 0x3a52, v162
	v_mul_f16_e64 v159, 0x2b26, v166
	v_mul_f16_e64 v162, 0x2b26, v167
	v_add_f16_e64 v44, v200, v44
	v_mul_f16_e64 v171, 0x3a52, v171
	v_mul_f16_e64 v182, 0xb846, v203
	;; [unrolled: 1-line block ×3, first 2 shown]
	v_sub_f16_e32 v39, v39, v42
	v_sub_f16_e64 v42, v179, v185
	v_add_f16_e64 v179, v40, v41
	v_add_f16_e64 v185, v181, v183
	v_sub_f16_e32 v40, v41, v40
	v_sub_f16_e64 v41, v183, v181
	v_add_f16_e64 v37, v37, v154
	v_add_f16_e64 v160, v160, v155
	v_fma_f16 v181, 0x3574, v47, v164
	v_fma_f16 v183, 0x3574, v49, v165
	v_fma_f16 v45, v45, 0x3b00, -v164
	v_fma_f16 v51, v51, 0x3b00, -v165
	v_fma_f16 v47, v47, 0xb574, -v168
	v_fma_f16 v49, v49, 0xb574, -v169
	v_add_f16_e64 v38, v38, v174
	v_add_f16_e64 v163, v163, v175
	v_fma_f16 v164, 0x2b26, v172, v170
	v_fma_f16 v168, v198, 0x39e0, -v176
	v_fma_f16 v169, v199, 0x39e0, -v178
	v_fma_f16 v172, 0x3574, v48, v180
	v_fma_f16 v46, v46, 0x3b00, -v180
	v_fma_f16 v48, v48, 0xb574, -v184
	v_add_f16_e64 v176, v177, v188
	v_add_f16_e64 v178, v187, v189
	v_add_f16_e64 v161, v201, v161
	v_fma_f16 v166, 0x2b26, v166, v157
	v_fma_f16 v167, 0x2b26, v167, v158
	v_fma_f16 v159, v190, 0x39e0, -v159
	v_fma_f16 v162, v191, 0x39e0, -v162
	;; [unrolled: 1-line block ×4, first 2 shown]
	v_fma_f16 v165, 0x2b26, v173, v171
	v_fma_f16 v170, v198, 0xb9e0, -v170
	v_fma_f16 v171, v199, 0xb9e0, -v171
	v_fma_f16 v173, 0x3574, v50, v182
	v_fma_f16 v52, v52, 0x3b00, -v182
	v_fma_f16 v50, v50, 0xb574, -v186
	v_sub_f16_e64 v180, v177, v188
	v_sub_f16_e64 v182, v187, v189
	;; [unrolled: 1-line block ×6, first 2 shown]
	v_add_f16_e64 v188, v40, v39
	v_add_f16_e64 v189, v41, v42
	v_sub_f16_e64 v190, v40, v39
	v_sub_f16_e64 v191, v41, v42
	v_sub_f16_e32 v39, v39, v36
	v_sub_f16_e64 v42, v42, v152
	v_fma_f16 v154, 0xbcab, v154, v37
	v_fma_f16 v155, 0xbcab, v155, v160
	v_fmac_f16_e64 v181, 0x370e, v43
	v_fmac_f16_e64 v183, 0x370e, v156
	v_fmac_f16_e32 v45, 0x370e, v43
	v_fmac_f16_e64 v51, 0x370e, v156
	v_fmac_f16_e32 v47, 0x370e, v43
	v_fmac_f16_e64 v49, 0x370e, v156
	v_fma_f16 v43, 0xbcab, v174, v38
	v_fma_f16 v156, 0xbcab, v175, v163
	v_fmac_f16_e64 v172, 0x370e, v44
	v_fmac_f16_e32 v46, 0x370e, v44
	v_fmac_f16_e32 v48, 0x370e, v44
	v_pack_b32_f16 v37, v37, v160
	v_add_f16_e64 v44, v179, v176
	v_add_f16_e64 v160, v185, v178
	v_sub_f16_e32 v40, v36, v40
	v_sub_f16_e64 v41, v152, v41
	v_fmac_f16_e64 v173, 0x370e, v161
	v_fmac_f16_e64 v52, 0x370e, v161
	;; [unrolled: 1-line block ×3, first 2 shown]
	v_pack_b32_f16 v38, v38, v163
	v_mul_f16_e64 v161, 0x3a52, v184
	v_mul_f16_e64 v163, 0x3a52, v186
	;; [unrolled: 1-line block ×8, first 2 shown]
	v_add_f16_e64 v166, v166, v154
	v_add_f16_e64 v167, v167, v155
	;; [unrolled: 1-line block ×16, first 2 shown]
	v_fma_f16 v35, 0x2b26, v177, v161
	v_fma_f16 v153, 0x2b26, v187, v163
	v_fma_f16 v169, v180, 0x39e0, -v174
	v_fma_f16 v170, v182, 0x39e0, -v175
	v_fma_f16 v161, v180, 0xb9e0, -v161
	v_fma_f16 v163, v182, 0xb9e0, -v163
	v_fma_f16 v171, 0x3574, v40, v176
	v_fma_f16 v174, 0x3574, v41, v178
	v_fma_f16 v39, v39, 0x3b00, -v176
	v_fma_f16 v42, v42, 0x3b00, -v178
	;; [unrolled: 1-line block ×4, first 2 shown]
	v_add_f16_e64 v175, v183, v166
	v_sub_f16_e64 v176, v167, v181
	v_add_f16_e64 v177, v49, v154
	v_sub_f16_e64 v178, v155, v47
	v_add_f16_e64 v180, v45, v162
	v_sub_f16_e64 v45, v162, v45
	v_sub_f16_e64 v49, v154, v49
	v_add_f16_e64 v47, v47, v155
	v_sub_f16_e64 v154, v166, v183
	v_add_f16_e64 v155, v181, v167
	v_add_f16_e64 v162, v173, v157
	;; [unrolled: 1-line block ×3, first 2 shown]
	v_sub_f16_e64 v181, v156, v48
	v_sub_f16_e64 v182, v165, v52
	v_add_f16_e64 v183, v46, v168
	v_add_f16_e64 v52, v52, v165
	v_sub_f16_e64 v46, v168, v46
	v_sub_f16_e32 v43, v43, v50
	v_add_f16_e64 v48, v48, v156
	v_sub_f16_e64 v50, v157, v173
	v_add_f16_e64 v156, v172, v164
	v_fma_f16 v44, 0xbcab, v44, v158
	v_fma_f16 v157, 0xbcab, v160, v159
	v_sub_f16_e64 v179, v185, v51
	v_add_f16_e64 v51, v51, v185
	v_sub_f16_e64 v166, v164, v172
	v_fmac_f16_e64 v171, 0x370e, v36
	v_fmac_f16_e64 v174, 0x370e, v152
	v_fmac_f16_e32 v39, 0x370e, v36
	v_fmac_f16_e64 v42, 0x370e, v152
	v_fmac_f16_e32 v40, 0x370e, v36
	v_fmac_f16_e64 v41, 0x370e, v152
	v_pack_b32_f16 v36, v175, v176
	v_pack_b32_f16 v47, v49, v47
	;; [unrolled: 1-line block ×6, first 2 shown]
	v_add_f16_e32 v50, v35, v44
	v_add_f16_e64 v52, v153, v157
	v_add_f16_e64 v154, v169, v44
	;; [unrolled: 1-line block ×5, first 2 shown]
	v_pack_b32_f16 v152, v177, v178
	v_pack_b32_f16 v160, v179, v180
	;; [unrolled: 1-line block ×5, first 2 shown]
	ds_store_b32 v55, v36 offset:480
	ds_store_b32 v55, v152 offset:960
	;; [unrolled: 1-line block ×6, first 2 shown]
	ds_store_2addr_b32 v55, v37, v38 offset1:56
	ds_store_b32 v55, v51 offset:704
	v_add_f16_e64 v160, v174, v50
	v_sub_f16_e64 v161, v52, v171
	v_add_f16_e32 v35, v41, v44
	v_sub_f16_e64 v152, v156, v40
	v_sub_f16_e64 v36, v154, v42
	v_add_f16_e64 v153, v39, v155
	v_add_f16_e64 v37, v42, v154
	v_sub_f16_e64 v154, v155, v39
	v_sub_f16_e32 v38, v44, v41
	v_add_f16_e64 v155, v40, v156
	v_sub_f16_e64 v156, v50, v174
	v_add_f16_e64 v157, v171, v52
	v_pack_b32_f16 v164, v182, v183
	ds_store_b32 v55, v162 offset:1184
	ds_store_b32 v55, v164 offset:1664
	;; [unrolled: 1-line block ×5, first 2 shown]
	s_and_saveexec_b32 s1, s0
	s_cbranch_execz .LBB0_19
; %bb.18:
	v_perm_b32 v39, v159, v158, 0x5040100
	v_perm_b32 v40, v161, v160, 0x5040100
	;; [unrolled: 1-line block ×4, first 2 shown]
	v_add_nc_u32_e32 v43, 0x400, v55
	v_perm_b32 v44, v154, v37, 0x5040100
	v_perm_b32 v45, v155, v38, 0x5040100
	v_add_nc_u32_e32 v46, 0x800, v55
	v_perm_b32 v47, v157, v156, 0x5040100
	ds_store_2addr_b32 v55, v39, v40 offset0:112 offset1:232
	ds_store_2addr_b32 v43, v41, v42 offset0:96 offset1:216
	ds_store_2addr_b32 v46, v44, v45 offset0:80 offset1:200
	ds_store_b32 v55, v47 offset:3328
.LBB0_19:
	s_wait_alu 0xfffe
	s_or_b32 exec_lo, exec_lo, s1
	global_wb scope:SCOPE_SE
	s_wait_dscnt 0x0
	s_barrier_signal -1
	s_barrier_wait -1
	global_inv scope:SCOPE_SE
	global_load_b32 v40, v[24:25], off offset:3360
	s_add_nc_u64 s[2:3], s[16:17], 0xd20
	s_clause 0xc
	global_load_b32 v48, v55, s[2:3] offset:1680
	global_load_b32 v52, v55, s[2:3] offset:224
	;; [unrolled: 1-line block ×13, first 2 shown]
	ds_load_2addr_b32 v[42:43], v55 offset1:56
	v_add_nc_u32_e32 v49, 0x800, v55
	s_wait_dscnt 0x0
	v_lshrrev_b32_e32 v41, 16, v42
	s_wait_loadcnt 0xc
	v_lshrrev_b32_e32 v179, 16, v48
	s_wait_loadcnt 0xb
	;; [unrolled: 2-line block ×6, first 2 shown]
	v_lshrrev_b32_e32 v183, 16, v171
	v_mul_f16_e64 v187, v43, v162
	s_wait_loadcnt 0x6
	v_lshrrev_b32_e32 v184, 16, v172
	s_wait_loadcnt 0x5
	v_lshrrev_b32_e32 v185, 16, v173
	v_lshrrev_b32_e32 v39, 16, v40
	s_wait_loadcnt 0x4
	v_lshrrev_b32_e32 v186, 16, v174
	s_wait_loadcnt 0x3
	;; [unrolled: 2-line block ×3, first 2 shown]
	v_lshrrev_b32_e32 v189, 16, v178
	v_mul_f16_e32 v44, v41, v39
	v_mul_f16_e32 v45, v42, v39
	v_add_nc_u32_e32 v39, 0x400, v55
	s_delay_alu instid0(VALU_DEP_3) | instskip(NEXT) | instid1(VALU_DEP_3)
	v_fma_f16 v44, v42, v40, -v44
	v_fmac_f16_e32 v45, v41, v40
	v_lshrrev_b32_e32 v40, 16, v43
	v_add_nc_u32_e32 v42, 0x600, v55
	v_add_nc_u32_e32 v41, 0x200, v55
	s_delay_alu instid0(VALU_DEP_4) | instskip(NEXT) | instid1(VALU_DEP_4)
	v_pack_b32_f16 v44, v44, v45
	v_mul_f16_e64 v166, v40, v162
	v_fmac_f16_e64 v187, v40, v52
	v_lshrrev_b32_e32 v40, 16, v176
	ds_store_b32 v55, v44
	ds_load_2addr_b32 v[44:45], v39 offset0:80 offset1:164
	ds_load_2addr_b32 v[46:47], v42 offset0:92 offset1:148
	;; [unrolled: 1-line block ×5, first 2 shown]
	v_fma_f16 v43, v43, v52, -v166
	ds_load_2addr_b32 v[166:167], v49 offset0:188 offset1:244
	v_lshrrev_b32_e32 v52, 16, v177
	v_pack_b32_f16 v43, v43, v187
	s_wait_dscnt 0x5
	v_lshrrev_b32_e32 v187, 16, v45
	s_wait_dscnt 0x4
	v_lshrrev_b32_e32 v191, 16, v46
	;; [unrolled: 2-line block ×3, first 2 shown]
	v_lshrrev_b32_e32 v195, 16, v47
	v_lshrrev_b32_e32 v197, 16, v51
	s_wait_dscnt 0x2
	v_lshrrev_b32_e32 v199, 16, v162
	s_wait_dscnt 0x1
	v_lshrrev_b32_e32 v201, 16, v164
	v_lshrrev_b32_e32 v203, 16, v163
	s_wait_dscnt 0x0
	v_lshrrev_b32_e32 v207, 16, v166
	v_mul_f16_e64 v190, v45, v179
	v_mul_f16_e64 v192, v46, v180
	v_lshrrev_b32_e32 v205, 16, v165
	v_lshrrev_b32_e32 v209, 16, v44
	;; [unrolled: 1-line block ×3, first 2 shown]
	v_mul_f16_e64 v179, v187, v179
	v_mul_f16_e64 v180, v191, v180
	;; [unrolled: 1-line block ×19, first 2 shown]
	v_fmac_f16_e64 v190, v187, v48
	v_fmac_f16_e64 v192, v191, v168
	v_mul_f16_e64 v187, v205, v188
	v_mul_f16_e64 v52, v209, v52
	;; [unrolled: 1-line block ×3, first 2 shown]
	v_fma_f16 v45, v45, v48, -v179
	v_fma_f16 v46, v46, v168, -v180
	v_fmac_f16_e64 v194, v193, v169
	v_fma_f16 v48, v50, v169, -v181
	v_fmac_f16_e64 v196, v195, v170
	v_fmac_f16_e64 v200, v199, v172
	v_fma_f16 v47, v47, v170, -v182
	v_fma_f16 v50, v51, v171, -v183
	;; [unrolled: 1-line block ×3, first 2 shown]
	v_fmac_f16_e64 v198, v197, v171
	v_fmac_f16_e64 v202, v201, v173
	v_fma_f16 v162, v164, v173, -v185
	v_fmac_f16_e64 v204, v203, v174
	v_fmac_f16_e64 v208, v207, v176
	v_fma_f16 v163, v163, v174, -v186
	v_fma_f16 v40, v166, v176, -v40
	v_fmac_f16_e64 v206, v205, v175
	v_fmac_f16_e64 v210, v209, v177
	;; [unrolled: 1-line block ×3, first 2 shown]
	v_fma_f16 v164, v165, v175, -v187
	v_fma_f16 v44, v44, v177, -v52
	;; [unrolled: 1-line block ×3, first 2 shown]
	v_pack_b32_f16 v45, v45, v190
	v_pack_b32_f16 v46, v46, v192
	;; [unrolled: 1-line block ×12, first 2 shown]
	ds_store_2addr_b32 v39, v45, v46 offset0:164 offset1:220
	ds_store_2addr_b32 v55, v43, v48 offset0:56 offset1:112
	;; [unrolled: 1-line block ×6, first 2 shown]
	ds_store_b32 v55, v52 offset:3024
	s_and_saveexec_b32 s1, vcc_lo
	s_cbranch_execz .LBB0_21
; %bb.20:
	s_wait_alu 0xfffe
	v_add_co_u32 v43, s2, s2, v55
	s_wait_alu 0xf1ff
	v_add_co_ci_u32_e64 v44, null, s3, 0, s2
	s_clause 0x1
	global_load_b32 v40, v[43:44], off offset:1568
	global_load_b32 v43, v[43:44], off offset:3248
	ds_load_b32 v44, v55 offset:1568
	ds_load_b32 v45, v55 offset:3248
	s_wait_dscnt 0x1
	v_lshrrev_b32_e32 v46, 16, v44
	s_wait_dscnt 0x0
	v_lshrrev_b32_e32 v48, 16, v45
	s_wait_loadcnt 0x1
	v_lshrrev_b32_e32 v47, 16, v40
	s_wait_loadcnt 0x0
	v_lshrrev_b32_e32 v50, 16, v43
	s_delay_alu instid0(VALU_DEP_2) | instskip(SKIP_1) | instid1(VALU_DEP_3)
	v_mul_f16_e32 v51, v46, v47
	v_mul_f16_e32 v47, v44, v47
	;; [unrolled: 1-line block ×4, first 2 shown]
	s_delay_alu instid0(VALU_DEP_4) | instskip(NEXT) | instid1(VALU_DEP_4)
	v_fma_f16 v44, v44, v40, -v51
	v_fmac_f16_e32 v47, v46, v40
	s_delay_alu instid0(VALU_DEP_4) | instskip(NEXT) | instid1(VALU_DEP_4)
	v_fma_f16 v40, v45, v43, -v52
	v_fmac_f16_e32 v50, v48, v43
	s_delay_alu instid0(VALU_DEP_3) | instskip(NEXT) | instid1(VALU_DEP_2)
	v_pack_b32_f16 v43, v44, v47
	v_pack_b32_f16 v40, v40, v50
	ds_store_b32 v55, v43 offset:1568
	ds_store_b32 v55, v40 offset:3248
.LBB0_21:
	s_wait_alu 0xfffe
	s_or_b32 exec_lo, exec_lo, s1
	global_wb scope:SCOPE_SE
	s_wait_dscnt 0x0
	s_barrier_signal -1
	s_barrier_wait -1
	global_inv scope:SCOPE_SE
	ds_load_2addr_b32 v[45:46], v55 offset1:56
	ds_load_2addr_b32 v[39:40], v39 offset0:80 offset1:164
	ds_load_2addr_b32 v[51:52], v42 offset0:92 offset1:148
	;; [unrolled: 1-line block ×6, first 2 shown]
	v_lshlrev_b32_e32 v163, 2, v103
	v_lshlrev_b32_e32 v162, 2, v104
	s_and_saveexec_b32 s1, vcc_lo
	s_cbranch_execz .LBB0_23
; %bb.22:
	ds_load_b32 v158, v55 offset:1568
	ds_load_b32 v160, v55 offset:3248
	s_wait_dscnt 0x1
	v_lshrrev_b32_e32 v159, 16, v158
	s_wait_dscnt 0x0
	v_lshrrev_b32_e32 v161, 16, v160
.LBB0_23:
	s_wait_alu 0xfffe
	s_or_b32 exec_lo, exec_lo, s1
	s_wait_dscnt 0x5
	v_pk_add_f16 v165, v45, v40 neg_lo:[0,1] neg_hi:[0,1]
	s_wait_dscnt 0x4
	v_pk_add_f16 v51, v46, v51 neg_lo:[0,1] neg_hi:[0,1]
	;; [unrolled: 2-line block ×3, first 2 shown]
	v_sub_f16_e64 v160, v158, v160
	v_sub_f16_e64 v161, v159, v161
	v_pk_fma_f16 v164, v45, 2.0, v165 op_sel_hi:[1,0,1] neg_lo:[0,0,1] neg_hi:[0,0,1]
	s_wait_dscnt 0x2
	v_pk_add_f16 v47, v44, v47 neg_lo:[0,1] neg_hi:[0,1]
	s_wait_dscnt 0x0
	v_pk_add_f16 v40, v39, v50 neg_lo:[0,1] neg_hi:[0,1]
	v_pk_fma_f16 v50, v46, 2.0, v51 op_sel_hi:[1,0,1] neg_lo:[0,0,1] neg_hi:[0,0,1]
	v_pk_add_f16 v166, v41, v48 neg_lo:[0,1] neg_hi:[0,1]
	v_pk_add_f16 v49, v42, v49 neg_lo:[0,1] neg_hi:[0,1]
	v_fma_f16 v103, v158, 2.0, -v160
	v_fma_f16 v104, v159, 2.0, -v161
	global_wb scope:SCOPE_SE
	s_barrier_signal -1
	s_barrier_wait -1
	global_inv scope:SCOPE_SE
	ds_store_b64 v90, v[164:165]
	ds_store_b64 v92, v[50:51]
	v_pk_fma_f16 v51, v43, 2.0, v52 op_sel_hi:[1,0,1] neg_lo:[0,0,1] neg_hi:[0,0,1]
	v_pk_fma_f16 v46, v44, 2.0, v47 op_sel_hi:[1,0,1] neg_lo:[0,0,1] neg_hi:[0,0,1]
	;; [unrolled: 1-line block ×5, first 2 shown]
	ds_store_b64 v89, v[51:52]
	ds_store_b64 v91, v[46:47]
	;; [unrolled: 1-line block ×5, first 2 shown]
	s_and_saveexec_b32 s1, vcc_lo
	s_cbranch_execz .LBB0_25
; %bb.24:
	v_perm_b32 v40, v161, v160, 0x5040100
	v_perm_b32 v39, v104, v103, 0x5040100
	ds_store_b64 v94, v[39:40]
.LBB0_25:
	s_wait_alu 0xfffe
	s_or_b32 exec_lo, exec_lo, s1
	v_add_nc_u32_e32 v39, 0x400, v55
	v_add_nc_u32_e32 v41, 0x600, v55
	;; [unrolled: 1-line block ×4, first 2 shown]
	global_wb scope:SCOPE_SE
	s_wait_dscnt 0x0
	s_barrier_signal -1
	s_barrier_wait -1
	global_inv scope:SCOPE_SE
	ds_load_2addr_b32 v[45:46], v55 offset1:56
	ds_load_2addr_b32 v[39:40], v39 offset0:80 offset1:164
	ds_load_2addr_b32 v[51:52], v41 offset0:92 offset1:148
	;; [unrolled: 1-line block ×6, first 2 shown]
	s_and_saveexec_b32 s1, vcc_lo
	s_cbranch_execz .LBB0_27
; %bb.26:
	ds_load_b32 v103, v55 offset:1568
	ds_load_b32 v160, v55 offset:3248
	s_wait_dscnt 0x1
	v_lshrrev_b32_e32 v104, 16, v103
	s_wait_dscnt 0x0
	v_lshrrev_b32_e32 v161, 16, v160
.LBB0_27:
	s_wait_alu 0xfffe
	s_or_b32 exec_lo, exec_lo, s1
	s_wait_dscnt 0x5
	v_lshrrev_b32_e32 v90, 16, v40
	s_wait_dscnt 0x4
	v_lshrrev_b32_e32 v92, 16, v51
	v_lshrrev_b32_e32 v94, 16, v52
	s_wait_dscnt 0x2
	v_lshrrev_b32_e32 v159, 16, v49
	v_mul_f16_e64 v167, v105, v40
	v_mul_f16_e64 v165, v105, v90
	v_mul_f16_e64 v171, v105, v52
	v_mul_f16_e64 v170, v105, v94
	v_lshrrev_b32_e32 v163, 16, v50
	s_wait_dscnt 0x0
	v_lshrrev_b32_e32 v166, 16, v47
	v_fmac_f16_e64 v165, v87, v40
	v_mul_f16_e32 v40, v105, v92
	v_fma_f16 v90, v87, v90, -v167
	v_mul_f16_e64 v167, v105, v51
	v_fmac_f16_e64 v170, v87, v52
	v_fma_f16 v52, v87, v94, -v171
	v_fmac_f16_e32 v40, v87, v51
	v_mul_f16_e64 v51, v105, v159
	v_mul_f16_e32 v94, v105, v49
	v_lshrrev_b32_e32 v169, 16, v48
	v_fma_f16 v92, v87, v92, -v167
	v_mul_f16_e64 v167, v105, v50
	v_fmac_f16_e32 v51, v87, v49
	v_mul_f16_e64 v49, v105, v163
	v_mul_f16_e64 v171, v105, v166
	v_fma_f16 v94, v87, v159, -v94
	v_mul_f16_e64 v159, v105, v47
	v_lshrrev_b32_e32 v89, 16, v45
	v_fmac_f16_e32 v49, v87, v50
	v_fma_f16 v50, v87, v163, -v167
	v_fmac_f16_e64 v171, v87, v47
	v_mul_f16_e64 v47, v105, v169
	v_fma_f16 v159, v87, v166, -v159
	v_mul_f16_e64 v163, v105, v48
	v_mul_f16_e64 v166, v105, v161
	;; [unrolled: 1-line block ×3, first 2 shown]
	v_lshrrev_b32_e32 v91, 16, v46
	v_lshrrev_b32_e32 v93, 16, v43
	v_fmac_f16_e32 v47, v87, v48
	v_sub_f16_e64 v48, v45, v165
	v_fma_f16 v163, v87, v169, -v163
	v_fmac_f16_e64 v166, v87, v160
	v_fma_f16 v87, v87, v161, -v105
	v_sub_f16_e32 v105, v89, v90
	v_lshrrev_b32_e32 v158, 16, v44
	v_sub_f16_e32 v40, v46, v40
	v_sub_f16_e32 v92, v91, v92
	v_lshrrev_b32_e32 v162, 16, v41
	v_lshrrev_b32_e32 v164, 16, v42
	;; [unrolled: 1-line block ×3, first 2 shown]
	v_fma_f16 v45, v45, 2.0, -v48
	v_sub_f16_e64 v160, v43, v170
	v_fma_f16 v161, v89, 2.0, -v105
	v_sub_f16_e32 v52, v93, v52
	v_fma_f16 v46, v46, 2.0, -v40
	v_fma_f16 v165, v91, 2.0, -v92
	v_sub_f16_e32 v51, v44, v51
	v_sub_f16_e64 v94, v158, v94
	v_sub_f16_e32 v49, v41, v49
	v_sub_f16_e64 v50, v162, v50
	v_sub_f16_e64 v167, v42, v171
	;; [unrolled: 1-line block ×3, first 2 shown]
	v_sub_f16_e32 v47, v39, v47
	v_sub_f16_e64 v163, v168, v163
	v_fma_f16 v43, v43, 2.0, -v160
	v_fma_f16 v93, v93, 2.0, -v52
	v_sub_f16_e64 v91, v103, v166
	v_sub_f16_e32 v90, v104, v87
	v_pack_b32_f16 v45, v45, v161
	v_pack_b32_f16 v48, v48, v105
	v_fma_f16 v44, v44, 2.0, -v51
	v_fma_f16 v158, v158, 2.0, -v94
	v_pack_b32_f16 v46, v46, v165
	v_pack_b32_f16 v40, v40, v92
	v_fma_f16 v41, v41, 2.0, -v49
	v_fma_f16 v162, v162, 2.0, -v50
	;; [unrolled: 1-line block ×8, first 2 shown]
	global_wb scope:SCOPE_SE
	s_barrier_signal -1
	s_barrier_wait -1
	global_inv scope:SCOPE_SE
	ds_store_2addr_b32 v100, v45, v48 offset1:2
	ds_store_2addr_b32 v101, v46, v40 offset1:2
	v_pack_b32_f16 v40, v43, v93
	v_pack_b32_f16 v43, v160, v52
	;; [unrolled: 1-line block ×10, first 2 shown]
	ds_store_2addr_b32 v95, v40, v43 offset1:2
	ds_store_2addr_b32 v96, v44, v45 offset1:2
	;; [unrolled: 1-line block ×5, first 2 shown]
	s_and_saveexec_b32 s1, vcc_lo
	s_cbranch_execz .LBB0_29
; %bb.28:
	v_and_or_b32 v39, 0x37c, v85, v86
	v_perm_b32 v40, v89, v87, 0x5040100
	v_perm_b32 v41, v90, v91, 0x5040100
	s_delay_alu instid0(VALU_DEP_3)
	v_lshlrev_b32_e32 v39, 2, v39
	ds_store_2addr_b32 v39, v40, v41 offset1:2
.LBB0_29:
	s_wait_alu 0xfffe
	s_or_b32 exec_lo, exec_lo, s1
	v_add_nc_u32_e32 v39, 0x400, v55
	v_add_nc_u32_e32 v41, 0x600, v55
	;; [unrolled: 1-line block ×4, first 2 shown]
	global_wb scope:SCOPE_SE
	s_wait_dscnt 0x0
	s_barrier_signal -1
	s_barrier_wait -1
	global_inv scope:SCOPE_SE
	ds_load_2addr_b32 v[45:46], v55 offset1:56
	ds_load_2addr_b32 v[39:40], v39 offset0:80 offset1:164
	ds_load_2addr_b32 v[51:52], v41 offset0:92 offset1:148
	;; [unrolled: 1-line block ×6, first 2 shown]
	s_and_saveexec_b32 s1, vcc_lo
	s_cbranch_execz .LBB0_31
; %bb.30:
	ds_load_b32 v87, v55 offset:1568
	ds_load_b32 v91, v55 offset:3248
	s_wait_dscnt 0x1
	v_lshrrev_b32_e32 v89, 16, v87
	s_wait_dscnt 0x0
	v_lshrrev_b32_e32 v90, 16, v91
.LBB0_31:
	s_wait_alu 0xfffe
	s_or_b32 exec_lo, exec_lo, s1
	s_wait_dscnt 0x5
	v_lshrrev_b32_e32 v92, 16, v40
	s_wait_dscnt 0x4
	v_lshrrev_b32_e32 v94, 16, v51
	v_lshrrev_b32_e32 v96, 16, v52
	s_wait_dscnt 0x2
	v_lshrrev_b32_e32 v100, 16, v50
	v_mul_f16_e64 v161, v113, v51
	v_mul_f16_e32 v105, v113, v92
	v_mul_f16_e64 v160, v113, v94
	v_lshrrev_b32_e32 v98, 16, v49
	s_wait_dscnt 0x0
	v_lshrrev_b32_e32 v103, 16, v47
	v_mul_f16_e64 v159, v113, v40
	v_fmac_f16_e32 v105, v102, v40
	v_mul_f16_e32 v40, v113, v96
	v_fmac_f16_e64 v160, v102, v51
	v_fma_f16 v51, v102, v94, -v161
	v_mul_f16_e32 v94, v113, v52
	v_mul_f16_e64 v161, v113, v100
	v_fma_f16 v92, v102, v92, -v159
	v_fmac_f16_e32 v40, v102, v52
	v_mul_f16_e32 v52, v113, v98
	v_mul_f16_e64 v159, v113, v49
	v_fma_f16 v94, v102, v96, -v94
	v_mul_f16_e32 v96, v113, v50
	v_fmac_f16_e64 v161, v102, v50
	v_mul_f16_e32 v50, v113, v103
	v_lshrrev_b32_e32 v158, 16, v48
	v_lshrrev_b32_e32 v86, 16, v45
	v_fmac_f16_e32 v52, v102, v49
	v_fma_f16 v49, v102, v98, -v159
	v_mul_f16_e32 v98, v113, v47
	v_fmac_f16_e32 v50, v102, v47
	v_mul_f16_e32 v47, v113, v90
	v_lshrrev_b32_e32 v93, 16, v46
	v_fma_f16 v96, v102, v100, -v96
	v_mul_f16_e64 v100, v113, v158
	v_mul_f16_e64 v159, v113, v48
	v_lshrrev_b32_e32 v95, 16, v43
	v_fma_f16 v98, v102, v103, -v98
	v_mul_f16_e32 v103, v113, v91
	v_fmac_f16_e32 v47, v102, v91
	v_sub_f16_e32 v91, v45, v105
	v_sub_f16_e32 v92, v86, v92
	v_lshrrev_b32_e32 v97, 16, v44
	v_sub_f16_e64 v105, v46, v160
	v_sub_f16_e32 v51, v93, v51
	v_lshrrev_b32_e32 v99, 16, v41
	v_lshrrev_b32_e32 v101, 16, v42
	;; [unrolled: 1-line block ×3, first 2 shown]
	v_fmac_f16_e32 v100, v102, v48
	v_fma_f16 v48, v102, v158, -v159
	v_fma_f16 v90, v102, v90, -v103
	v_fma_f16 v45, v45, 2.0, -v91
	v_fma_f16 v86, v86, 2.0, -v92
	v_sub_f16_e32 v102, v43, v40
	v_sub_f16_e32 v94, v95, v94
	v_fma_f16 v46, v46, 2.0, -v105
	v_fma_f16 v93, v93, 2.0, -v51
	v_sub_f16_e32 v52, v44, v52
	v_sub_f16_e32 v49, v97, v49
	v_sub_f16_e64 v103, v41, v161
	v_sub_f16_e32 v96, v99, v96
	v_sub_f16_e32 v50, v42, v50
	;; [unrolled: 1-line block ×5, first 2 shown]
	v_fma_f16 v43, v43, 2.0, -v102
	v_fma_f16 v95, v95, 2.0, -v94
	v_sub_f16_e32 v40, v87, v47
	v_pack_b32_f16 v45, v45, v86
	v_pack_b32_f16 v47, v91, v92
	v_fma_f16 v44, v44, 2.0, -v52
	v_fma_f16 v97, v97, 2.0, -v49
	v_pack_b32_f16 v46, v46, v93
	v_pack_b32_f16 v51, v105, v51
	v_fma_f16 v113, v41, 2.0, -v103
	v_fma_f16 v99, v99, 2.0, -v96
	;; [unrolled: 1-line block ×6, first 2 shown]
	v_sub_f16_e32 v41, v89, v90
	global_wb scope:SCOPE_SE
	s_barrier_signal -1
	s_barrier_wait -1
	global_inv scope:SCOPE_SE
	ds_store_2addr_b32 v111, v45, v47 offset1:4
	ds_store_2addr_b32 v112, v46, v51 offset1:4
	v_pack_b32_f16 v43, v43, v95
	v_pack_b32_f16 v45, v102, v94
	;; [unrolled: 1-line block ×10, first 2 shown]
	ds_store_2addr_b32 v106, v43, v45 offset1:4
	ds_store_2addr_b32 v107, v44, v46 offset1:4
	;; [unrolled: 1-line block ×5, first 2 shown]
	s_and_saveexec_b32 s1, vcc_lo
	s_cbranch_execz .LBB0_33
; %bb.32:
	v_fma_f16 v39, v87, 2.0, -v40
	v_and_or_b32 v42, 0x378, v85, v88
	v_fma_f16 v43, v89, 2.0, -v41
	s_delay_alu instid0(VALU_DEP_2) | instskip(NEXT) | instid1(VALU_DEP_2)
	v_lshlrev_b32_e32 v42, 2, v42
	v_pack_b32_f16 v39, v39, v43
	v_perm_b32 v43, v41, v40, 0x5040100
	ds_store_2addr_b32 v42, v39, v43 offset1:4
.LBB0_33:
	s_wait_alu 0xfffe
	s_or_b32 exec_lo, exec_lo, s1
	v_add_nc_u32_e32 v44, 0x200, v55
	v_add_nc_u32_e32 v42, 0x800, v55
	;; [unrolled: 1-line block ×3, first 2 shown]
	global_wb scope:SCOPE_SE
	s_wait_dscnt 0x0
	s_barrier_signal -1
	s_barrier_wait -1
	global_inv scope:SCOPE_SE
	ds_load_2addr_b32 v[45:46], v55 offset1:56
	ds_load_2addr_b32 v[47:48], v55 offset0:112 offset1:168
	ds_load_b32 v39, v55 offset:3136
	ds_load_2addr_b32 v[49:50], v44 offset0:96 offset1:152
	ds_load_2addr_b32 v[51:52], v42 offset0:48 offset1:104
	;; [unrolled: 1-line block ×5, first 2 shown]
	global_wb scope:SCOPE_SE
	s_wait_dscnt 0x0
	s_barrier_signal -1
	s_barrier_wait -1
	global_inv scope:SCOPE_SE
	v_lshrrev_b32_e32 v93, 16, v47
	v_lshrrev_b32_e32 v95, 16, v39
	;; [unrolled: 1-line block ×6, first 2 shown]
	v_mul_f16_e32 v105, v127, v50
	v_mul_f16_e32 v106, v127, v96
	;; [unrolled: 1-line block ×3, first 2 shown]
	v_lshrrev_b32_e32 v100, 16, v86
	v_lshrrev_b32_e32 v101, 16, v87
	v_mul_f16_e32 v109, v126, v51
	v_fmac_f16_e32 v106, v27, v50
	v_mul_f16_e32 v50, v127, v98
	v_fma_f16 v96, v27, v96, -v105
	v_fmac_f16_e32 v108, v28, v51
	v_mul_f16_e32 v51, v127, v85
	v_mul_f16_e32 v105, v126, v99
	v_fmac_f16_e32 v50, v27, v85
	v_mul_f16_e32 v85, v126, v52
	v_lshrrev_b32_e32 v102, 16, v89
	v_fma_f16 v51, v27, v98, -v51
	v_mul_f16_e32 v98, v127, v100
	v_fmac_f16_e32 v105, v28, v52
	v_mul_f16_e32 v52, v127, v86
	v_fma_f16 v85, v28, v99, -v85
	v_mul_f16_e32 v99, v126, v101
	v_lshrrev_b32_e32 v103, 16, v88
	v_lshrrev_b32_e32 v107, 16, v90
	v_fmac_f16_e32 v98, v27, v86
	v_mul_f16_e32 v86, v126, v87
	v_fma_f16 v52, v27, v100, -v52
	v_mul_f16_e32 v100, v127, v102
	v_fmac_f16_e32 v99, v28, v87
	v_mul_f16_e32 v87, v127, v89
	v_fma_f16 v86, v28, v101, -v86
	v_mul_f16_e32 v101, v126, v103
	;; [unrolled: 4-line block ×3, first 2 shown]
	v_fma_f16 v97, v28, v97, -v109
	v_fmac_f16_e32 v101, v28, v88
	v_mul_f16_e32 v88, v127, v90
	v_fma_f16 v89, v28, v103, -v89
	v_mul_f16_e32 v103, v126, v95
	v_fmac_f16_e32 v102, v27, v90
	v_mul_f16_e32 v90, v126, v39
	v_lshrrev_b32_e32 v91, 16, v45
	v_fma_f16 v27, v27, v107, -v88
	v_add_f16_e32 v88, v106, v108
	v_fmac_f16_e32 v103, v28, v39
	v_fma_f16 v28, v28, v95, -v90
	v_add_f16_e32 v90, v96, v97
	v_add_f16_e32 v39, v45, v106
	v_fma_f16 v45, -0.5, v88, v45
	v_sub_f16_e32 v88, v96, v97
	v_add_f16_e32 v95, v91, v96
	v_fmac_f16_e32 v91, -0.5, v90
	v_sub_f16_e32 v90, v106, v108
	v_lshrrev_b32_e32 v92, 16, v46
	v_fmamk_f16 v96, v88, 0xbaee, v45
	v_fmac_f16_e32 v45, 0x3aee, v88
	v_add_f16_e32 v88, v95, v97
	v_add_f16_e32 v95, v50, v105
	v_fmamk_f16 v97, v90, 0x3aee, v91
	v_fmac_f16_e32 v91, 0xbaee, v90
	v_add_f16_e32 v90, v51, v85
	v_add_f16_e32 v106, v46, v50
	v_fmac_f16_e32 v46, -0.5, v95
	v_sub_f16_e32 v95, v51, v85
	v_add_f16_e32 v51, v92, v51
	v_fmac_f16_e32 v92, -0.5, v90
	v_sub_f16_e32 v50, v50, v105
	v_add_f16_e32 v106, v106, v105
	v_fmamk_f16 v90, v95, 0xbaee, v46
	v_fmac_f16_e32 v46, 0x3aee, v95
	v_add_f16_e32 v51, v51, v85
	v_add_f16_e32 v85, v98, v99
	v_fmamk_f16 v95, v50, 0x3aee, v92
	v_fmac_f16_e32 v92, 0xbaee, v50
	v_add_f16_e32 v50, v52, v86
	v_add_f16_e32 v105, v47, v98
	v_fma_f16 v47, -0.5, v85, v47
	v_sub_f16_e32 v85, v52, v86
	v_add_f16_e32 v52, v93, v52
	v_fmac_f16_e32 v93, -0.5, v50
	v_sub_f16_e32 v50, v98, v99
	v_lshrrev_b32_e32 v94, 16, v48
	v_fmamk_f16 v98, v85, 0xbaee, v47
	v_fmac_f16_e32 v47, 0x3aee, v85
	v_add_f16_e32 v52, v52, v86
	v_add_f16_e32 v85, v100, v101
	v_fmamk_f16 v86, v50, 0x3aee, v93
	v_fmac_f16_e32 v93, 0xbaee, v50
	v_add_f16_e32 v50, v87, v89
	v_add_f16_e32 v105, v105, v99
	;; [unrolled: 1-line block ×3, first 2 shown]
	v_fmac_f16_e32 v48, -0.5, v85
	v_sub_f16_e32 v85, v87, v89
	v_add_f16_e32 v87, v94, v87
	v_fmac_f16_e32 v94, -0.5, v50
	v_sub_f16_e32 v50, v100, v101
	v_lshrrev_b32_e32 v104, 16, v49
	v_fmamk_f16 v100, v85, 0xbaee, v48
	v_fmac_f16_e32 v48, 0x3aee, v85
	v_add_f16_e32 v85, v87, v89
	v_add_f16_e32 v87, v102, v103
	v_fmamk_f16 v89, v50, 0x3aee, v94
	v_fmac_f16_e32 v94, 0xbaee, v50
	v_add_f16_e32 v50, v27, v28
	v_add_f16_e32 v39, v39, v108
	;; [unrolled: 1-line block ×4, first 2 shown]
	v_fmac_f16_e32 v49, -0.5, v87
	v_sub_f16_e32 v87, v27, v28
	v_add_f16_e32 v27, v104, v27
	v_fmac_f16_e32 v104, -0.5, v50
	v_sub_f16_e32 v50, v102, v103
	v_pack_b32_f16 v39, v39, v88
	v_pack_b32_f16 v45, v45, v91
	v_add_f16_e32 v27, v27, v28
	v_fmamk_f16 v102, v87, 0xbaee, v49
	v_fmamk_f16 v28, v50, 0x3aee, v104
	v_fmac_f16_e32 v104, 0xbaee, v50
	v_pack_b32_f16 v50, v96, v97
	v_fmac_f16_e32 v49, 0x3aee, v87
	v_pack_b32_f16 v51, v106, v51
	v_pack_b32_f16 v87, v90, v95
	v_add_f16_e32 v101, v101, v103
	v_pack_b32_f16 v46, v46, v92
	v_pack_b32_f16 v52, v105, v52
	;; [unrolled: 1-line block ×3, first 2 shown]
	ds_store_2addr_b32 v121, v39, v50 offset1:8
	ds_store_b32 v121, v45 offset:64
	ds_store_2addr_b32 v120, v51, v87 offset1:8
	ds_store_b32 v120, v46 offset:64
	ds_store_2addr_b32 v118, v52, v86 offset1:8
	v_pack_b32_f16 v39, v47, v93
	v_pack_b32_f16 v45, v99, v85
	;; [unrolled: 1-line block ×7, first 2 shown]
	ds_store_b32 v118, v39 offset:64
	ds_store_2addr_b32 v117, v45, v46 offset1:8
	ds_store_b32 v117, v47 offset:64
	ds_store_2addr_b32 v116, v27, v28 offset1:8
	ds_store_b32 v116, v48 offset:64
	global_wb scope:SCOPE_SE
	s_wait_dscnt 0x0
	s_barrier_signal -1
	s_barrier_wait -1
	global_inv scope:SCOPE_SE
	ds_load_2addr_b32 v[27:28], v55 offset1:56
	ds_load_2addr_b32 v[46:47], v55 offset0:112 offset1:168
	ds_load_2addr_b32 v[48:49], v43 offset0:80 offset1:136
	;; [unrolled: 1-line block ×6, first 2 shown]
	ds_load_b32 v39, v55 offset:3136
	global_wb scope:SCOPE_SE
	s_wait_dscnt 0x0
	s_barrier_signal -1
	s_barrier_wait -1
	global_inv scope:SCOPE_SE
	v_lshrrev_b32_e32 v52, 16, v27
	v_lshrrev_b32_e32 v45, 16, v47
	;; [unrolled: 1-line block ×5, first 2 shown]
	v_mul_f16_e64 v105, v151, v47
	v_mul_f16_e64 v104, v151, v45
	;; [unrolled: 1-line block ×3, first 2 shown]
	v_lshrrev_b32_e32 v95, 16, v87
	v_lshrrev_b32_e32 v96, 16, v49
	v_mul_f16_e64 v107, v150, v48
	v_mul_f16_e64 v108, v149, v92
	v_fmac_f16_e32 v104, v12, v47
	v_fma_f16 v12, v12, v45, -v105
	v_fmac_f16_e32 v106, v13, v48
	v_mul_f16_e64 v45, v149, v51
	v_mul_f16_e64 v47, v148, v93
	;; [unrolled: 1-line block ×3, first 2 shown]
	v_lshrrev_b32_e32 v97, 16, v89
	v_lshrrev_b32_e32 v98, 16, v86
	v_fma_f16 v13, v13, v91, -v107
	v_fmac_f16_e32 v108, v14, v51
	v_mul_f16_e64 v51, v147, v95
	v_mul_f16_e64 v91, v147, v87
	v_fma_f16 v14, v14, v92, -v45
	v_fmac_f16_e32 v47, v15, v85
	v_fma_f16 v15, v15, v93, -v48
	v_mul_f16_e64 v45, v146, v96
	v_mul_f16_e64 v48, v146, v49
	v_lshrrev_b32_e32 v100, 16, v88
	v_lshrrev_b32_e32 v101, 16, v50
	v_fmac_f16_e32 v51, v8, v87
	v_fma_f16 v8, v8, v95, -v91
	v_mul_f16_e64 v85, v145, v97
	v_mul_f16_e64 v87, v145, v89
	;; [unrolled: 1-line block ×3, first 2 shown]
	v_fmac_f16_e32 v45, v9, v49
	v_fma_f16 v9, v9, v96, -v48
	v_mul_f16_e64 v48, v144, v86
	v_lshrrev_b32_e32 v102, 16, v90
	v_lshrrev_b32_e32 v103, 16, v39
	v_fmac_f16_e32 v85, v10, v89
	v_fma_f16 v10, v10, v97, -v87
	v_fmac_f16_e32 v91, v11, v86
	v_mul_f16_e64 v49, v143, v100
	v_mul_f16_e64 v86, v143, v88
	v_mul_f16_e64 v87, v142, v101
	v_mul_f16_e64 v89, v142, v50
	v_fma_f16 v11, v11, v98, -v48
	v_add_f16_e32 v48, v106, v108
	v_fmac_f16_e32 v49, v4, v88
	v_fma_f16 v4, v4, v100, -v86
	v_fmac_f16_e32 v87, v5, v50
	v_fma_f16 v5, v5, v101, -v89
	v_mul_f16_e64 v50, v141, v102
	v_mul_f16_e64 v86, v141, v90
	;; [unrolled: 1-line block ×3, first 2 shown]
	v_add_f16_e32 v89, v27, v104
	v_fma_f16 v48, -0.5, v48, v27
	v_sub_f16_e32 v92, v12, v15
	v_fmac_f16_e32 v50, v6, v90
	v_fma_f16 v6, v6, v102, -v86
	v_fmac_f16_e32 v88, v7, v39
	v_add_f16_e32 v86, v89, v106
	v_fmamk_f16 v89, v92, 0xbb9c, v48
	v_sub_f16_e32 v90, v13, v14
	v_sub_f16_e32 v93, v104, v106
	;; [unrolled: 1-line block ×3, first 2 shown]
	v_add_f16_e32 v96, v104, v47
	v_mul_f16_e64 v39, v136, v39
	v_fmac_f16_e32 v48, 0x3b9c, v92
	v_add_f16_e32 v86, v86, v108
	v_fmac_f16_e32 v89, 0xb8b4, v90
	v_add_f16_e32 v93, v93, v95
	v_fma_f16 v27, -0.5, v96, v27
	v_fma_f16 v7, v7, v103, -v39
	v_sub_f16_e32 v39, v106, v104
	v_sub_f16_e32 v96, v108, v47
	v_fmac_f16_e32 v48, 0x38b4, v90
	v_add_f16_e32 v97, v52, v12
	v_add_f16_e32 v98, v13, v14
	;; [unrolled: 1-line block ×3, first 2 shown]
	v_fmac_f16_e32 v89, 0x34f2, v93
	v_fmamk_f16 v95, v90, 0x3b9c, v27
	v_add_f16_e32 v39, v39, v96
	v_fmac_f16_e32 v27, 0xbb9c, v90
	v_add_f16_e32 v90, v97, v13
	v_fma_f16 v96, -0.5, v98, v52
	v_sub_f16_e32 v47, v104, v47
	v_fmac_f16_e32 v48, 0x34f2, v93
	v_add_f16_e32 v93, v12, v15
	v_sub_f16_e32 v98, v12, v13
	v_sub_f16_e32 v12, v13, v12
	;; [unrolled: 1-line block ×3, first 2 shown]
	v_fmac_f16_e32 v95, 0xb8b4, v92
	v_fmac_f16_e32 v27, 0x38b4, v92
	v_add_f16_e32 v90, v90, v14
	v_fmamk_f16 v92, v47, 0x3b9c, v96
	v_sub_f16_e32 v97, v106, v108
	v_sub_f16_e32 v100, v15, v14
	v_fmac_f16_e32 v52, -0.5, v93
	v_fmac_f16_e32 v96, 0xbb9c, v47
	v_add_f16_e32 v14, v45, v85
	v_add_f16_e32 v12, v12, v13
	;; [unrolled: 1-line block ×3, first 2 shown]
	v_lshrrev_b32_e32 v94, 16, v28
	v_fmac_f16_e32 v95, 0x34f2, v39
	v_fmac_f16_e32 v27, 0x34f2, v39
	v_add_f16_e32 v90, v90, v15
	v_fmac_f16_e32 v92, 0x38b4, v97
	v_add_f16_e32 v39, v98, v100
	v_fmamk_f16 v93, v97, 0xbb9c, v52
	v_fmac_f16_e32 v96, 0xb8b4, v97
	v_fma_f16 v14, -0.5, v14, v28
	v_sub_f16_e32 v15, v8, v11
	v_fmac_f16_e32 v52, 0x3b9c, v97
	v_add_f16_e32 v13, v13, v45
	v_add_f16_e32 v101, v51, v91
	v_fmac_f16_e32 v92, 0x34f2, v39
	v_fmac_f16_e32 v93, 0x38b4, v47
	;; [unrolled: 1-line block ×3, first 2 shown]
	v_fmamk_f16 v97, v15, 0xbb9c, v14
	v_sub_f16_e32 v39, v9, v10
	v_sub_f16_e32 v98, v51, v45
	;; [unrolled: 1-line block ×3, first 2 shown]
	v_fmac_f16_e32 v52, 0xb8b4, v47
	v_add_f16_e32 v13, v13, v85
	v_fmac_f16_e32 v28, -0.5, v101
	v_fmac_f16_e32 v14, 0x3b9c, v15
	v_add_f16_e32 v101, v94, v8
	v_fmac_f16_e32 v93, 0x34f2, v12
	v_fmac_f16_e32 v97, 0xb8b4, v39
	v_add_f16_e32 v47, v98, v100
	v_fmac_f16_e32 v52, 0x34f2, v12
	v_add_f16_e32 v12, v13, v91
	v_fmamk_f16 v13, v39, 0x3b9c, v28
	v_sub_f16_e32 v98, v45, v51
	v_sub_f16_e32 v100, v85, v91
	v_fmac_f16_e32 v14, 0x38b4, v39
	v_add_f16_e32 v102, v9, v10
	v_fmac_f16_e32 v28, 0xbb9c, v39
	v_add_f16_e32 v39, v101, v9
	;; [unrolled: 2-line block ×3, first 2 shown]
	v_fma_f16 v100, -0.5, v102, v94
	v_sub_f16_e32 v51, v51, v91
	v_fmac_f16_e32 v28, 0x38b4, v15
	v_add_f16_e32 v15, v39, v10
	v_add_f16_e32 v39, v8, v11
	v_fmac_f16_e32 v97, 0x34f2, v47
	v_fmac_f16_e32 v14, 0x34f2, v47
	v_fmamk_f16 v47, v51, 0x3b9c, v100
	v_sub_f16_e32 v45, v45, v85
	v_sub_f16_e32 v85, v8, v9
	;; [unrolled: 1-line block ×3, first 2 shown]
	v_fmac_f16_e32 v94, -0.5, v39
	v_fmac_f16_e32 v100, 0xbb9c, v51
	v_sub_f16_e32 v8, v9, v8
	v_sub_f16_e32 v9, v10, v11
	v_add_f16_e32 v10, v87, v50
	v_fmac_f16_e32 v47, 0x38b4, v45
	v_add_f16_e32 v85, v85, v91
	v_fmamk_f16 v91, v45, 0xbb9c, v94
	v_fmac_f16_e32 v100, 0xb8b4, v45
	v_add_f16_e32 v8, v8, v9
	v_fmac_f16_e32 v94, 0x3b9c, v45
	v_add_f16_e32 v9, v46, v49
	v_fma_f16 v39, -0.5, v10, v46
	v_sub_f16_e32 v10, v4, v7
	v_fmac_f16_e32 v13, 0x34f2, v98
	v_fmac_f16_e32 v28, 0x34f2, v98
	v_add_f16_e32 v15, v15, v11
	v_fmac_f16_e32 v47, 0x34f2, v85
	v_fmac_f16_e32 v91, 0x38b4, v51
	;; [unrolled: 1-line block ×4, first 2 shown]
	v_add_f16_e32 v9, v9, v87
	v_fmamk_f16 v11, v10, 0xbb9c, v39
	v_sub_f16_e32 v45, v5, v6
	v_sub_f16_e32 v51, v49, v87
	;; [unrolled: 1-line block ×3, first 2 shown]
	v_fmac_f16_e32 v39, 0x3b9c, v10
	v_add_f16_e32 v98, v49, v88
	v_lshrrev_b32_e32 v99, 16, v46
	v_add_f16_e32 v9, v9, v50
	v_fmac_f16_e32 v11, 0xb8b4, v45
	v_add_f16_e32 v51, v51, v85
	v_fmac_f16_e32 v39, 0x38b4, v45
	v_fmac_f16_e32 v46, -0.5, v98
	v_fmac_f16_e32 v91, 0x34f2, v8
	v_fmac_f16_e32 v94, 0x34f2, v8
	v_add_f16_e32 v8, v9, v88
	v_fmac_f16_e32 v11, 0x34f2, v51
	v_fmac_f16_e32 v39, 0x34f2, v51
	v_fmamk_f16 v9, v45, 0x3b9c, v46
	v_add_f16_e32 v51, v5, v6
	v_sub_f16_e32 v85, v87, v49
	v_sub_f16_e32 v98, v50, v88
	v_fmac_f16_e32 v46, 0xbb9c, v45
	v_sub_f16_e32 v49, v49, v88
	v_add_f16_e32 v88, v4, v7
	v_add_f16_e32 v101, v99, v4
	v_fma_f16 v45, -0.5, v51, v99
	v_fmac_f16_e32 v9, 0xb8b4, v10
	v_add_f16_e32 v51, v85, v98
	v_fmac_f16_e32 v46, 0x38b4, v10
	v_sub_f16_e32 v50, v87, v50
	v_fmac_f16_e32 v99, -0.5, v88
	v_add_f16_e32 v10, v101, v5
	v_fmamk_f16 v85, v49, 0x3b9c, v45
	v_fmac_f16_e32 v9, 0x34f2, v51
	v_fmac_f16_e32 v46, 0x34f2, v51
	v_sub_f16_e32 v51, v4, v5
	v_sub_f16_e32 v87, v7, v6
	v_fmac_f16_e32 v45, 0xbb9c, v49
	v_fmamk_f16 v88, v50, 0xbb9c, v99
	v_sub_f16_e32 v4, v5, v4
	v_sub_f16_e32 v5, v6, v7
	v_fmac_f16_e32 v99, 0x3b9c, v50
	v_add_f16_e32 v10, v10, v6
	v_fmac_f16_e32 v85, 0x38b4, v50
	v_add_f16_e32 v6, v51, v87
	v_fmac_f16_e32 v45, 0xb8b4, v50
	v_fmac_f16_e32 v88, 0x38b4, v49
	v_add_f16_e32 v4, v4, v5
	v_fmac_f16_e32 v99, 0xb8b4, v49
	v_fmac_f16_e32 v85, 0x34f2, v6
	v_fmac_f16_e32 v45, 0x34f2, v6
	v_pack_b32_f16 v6, v89, v92
	v_fmac_f16_e32 v88, 0x34f2, v4
	v_fmac_f16_e32 v99, 0x34f2, v4
	v_pack_b32_f16 v4, v86, v90
	v_add_f16_e32 v5, v10, v7
	v_pack_b32_f16 v7, v95, v93
	v_pack_b32_f16 v10, v27, v52
	;; [unrolled: 1-line block ×5, first 2 shown]
	ds_store_2addr_b32 v119, v4, v6 offset1:24
	ds_store_2addr_b32 v119, v7, v10 offset0:48 offset1:72
	ds_store_b32 v119, v27 offset:384
	ds_store_2addr_b32 v115, v12, v15 offset1:24
	v_pack_b32_f16 v4, v13, v91
	v_pack_b32_f16 v6, v28, v94
	;; [unrolled: 1-line block ×8, first 2 shown]
	ds_store_2addr_b32 v115, v4, v6 offset0:48 offset1:72
	ds_store_b32 v115, v7 offset:384
	ds_store_2addr_b32 v114, v5, v8 offset1:24
	ds_store_2addr_b32 v114, v9, v10 offset0:48 offset1:72
	ds_store_b32 v114, v11 offset:384
	v_add_nc_u32_e32 v6, 0x600, v55
	v_add_nc_u32_e32 v7, 0xa00, v55
	global_wb scope:SCOPE_SE
	s_wait_dscnt 0x0
	s_barrier_signal -1
	s_barrier_wait -1
	global_inv scope:SCOPE_SE
	ds_load_2addr_b32 v[4:5], v55 offset1:56
	ds_load_2addr_b32 v[27:28], v55 offset0:120 offset1:176
	ds_load_2addr_b32 v[14:15], v44 offset0:112 offset1:168
	;; [unrolled: 1-line block ×6, first 2 shown]
	s_and_saveexec_b32 s1, s0
	s_cbranch_execz .LBB0_35
; %bb.34:
	ds_load_2addr_b32 v[39:40], v55 offset0:112 offset1:232
	ds_load_2addr_b32 v[35:36], v43 offset0:96 offset1:216
	;; [unrolled: 1-line block ×3, first 2 shown]
	ds_load_b32 v156, v55 offset:3328
	s_wait_dscnt 0x3
	v_lshrrev_b32_e32 v45, 16, v39
	v_lshrrev_b32_e32 v41, 16, v40
	s_wait_dscnt 0x2
	v_lshrrev_b32_e32 v152, 16, v35
	v_lshrrev_b32_e32 v153, 16, v36
	;; [unrolled: 3-line block ×3, first 2 shown]
	s_wait_dscnt 0x0
	v_lshrrev_b32_e32 v157, 16, v156
.LBB0_35:
	s_wait_alu 0xfffe
	s_or_b32 exec_lo, exec_lo, s1
	s_wait_dscnt 0x5
	v_lshrrev_b32_e32 v43, 16, v27
	s_wait_dscnt 0x4
	v_lshrrev_b32_e32 v44, 16, v14
	;; [unrolled: 2-line block ×5, first 2 shown]
	v_mul_f16_e64 v88, v140, v43
	v_mul_f16_e64 v89, v140, v27
	;; [unrolled: 1-line block ×4, first 2 shown]
	s_wait_dscnt 0x0
	v_lshrrev_b32_e32 v49, 16, v6
	v_lshrrev_b32_e32 v51, 16, v28
	v_fmac_f16_e32 v88, v20, v27
	v_fma_f16 v20, v20, v43, -v89
	v_fmac_f16_e32 v90, v21, v14
	v_fma_f16 v14, v21, v44, -v91
	v_mul_f16_e64 v21, v138, v46
	v_mul_f16_e64 v27, v138, v12
	;; [unrolled: 1-line block ×5, first 2 shown]
	v_lshrrev_b32_e32 v52, 16, v15
	v_lshrrev_b32_e32 v85, 16, v13
	v_lshrrev_b32_e32 v86, 16, v11
	v_fmac_f16_e32 v21, v22, v12
	v_fma_f16 v12, v22, v46, -v27
	v_fmac_f16_e32 v43, v23, v10
	v_fma_f16 v10, v23, v47, -v44
	v_fmac_f16_e32 v89, v31, v8
	v_mul_f16_e64 v8, v135, v8
	v_mul_f16_e64 v22, v134, v49
	;; [unrolled: 1-line block ×5, first 2 shown]
	v_lshrrev_b32_e32 v87, 16, v9
	v_lshrrev_b32_e32 v92, 16, v7
	v_fma_f16 v8, v31, v48, -v8
	v_fmac_f16_e32 v22, v32, v6
	v_fma_f16 v6, v32, v49, -v23
	v_fmac_f16_e32 v27, v16, v28
	v_fma_f16 v16, v16, v51, -v44
	v_mul_f16_e64 v23, v132, v52
	v_mul_f16_e64 v28, v132, v15
	;; [unrolled: 1-line block ×5, first 2 shown]
	v_fmac_f16_e32 v23, v17, v15
	v_fma_f16 v15, v17, v52, -v28
	v_fmac_f16_e32 v31, v18, v13
	v_fma_f16 v13, v18, v85, -v32
	v_fmac_f16_e32 v44, v19, v11
	v_mul_f16_e64 v11, v130, v11
	v_mul_f16_e64 v17, v129, v87
	;; [unrolled: 1-line block ×5, first 2 shown]
	v_fma_f16 v11, v19, v86, -v11
	v_fmac_f16_e32 v17, v33, v9
	v_fma_f16 v9, v33, v87, -v18
	v_fmac_f16_e32 v28, v34, v7
	v_fma_f16 v7, v34, v92, -v32
	v_add_f16_e32 v18, v88, v22
	v_add_f16_e32 v19, v20, v6
	v_sub_f16_e32 v6, v20, v6
	v_add_f16_e32 v20, v90, v89
	v_add_f16_e32 v32, v14, v8
	v_sub_f16_e32 v22, v88, v22
	v_sub_f16_e32 v33, v90, v89
	;; [unrolled: 1-line block ×3, first 2 shown]
	v_add_f16_e32 v14, v21, v43
	v_add_f16_e32 v34, v12, v10
	v_sub_f16_e32 v21, v43, v21
	v_sub_f16_e32 v10, v10, v12
	v_add_f16_e32 v12, v20, v18
	v_add_f16_e32 v43, v32, v19
	v_lshrrev_b32_e32 v42, 16, v4
	v_sub_f16_e32 v46, v20, v18
	v_sub_f16_e32 v47, v32, v19
	;; [unrolled: 1-line block ×6, first 2 shown]
	v_add_f16_e32 v48, v21, v33
	v_add_f16_e32 v49, v10, v8
	v_sub_f16_e32 v51, v21, v33
	v_sub_f16_e32 v52, v10, v8
	;; [unrolled: 1-line block ×3, first 2 shown]
	v_add_f16_e32 v12, v14, v12
	v_add_f16_e32 v14, v34, v43
	v_sub_f16_e32 v8, v8, v6
	v_sub_f16_e32 v21, v22, v21
	v_sub_f16_e32 v10, v6, v10
	v_add_f16_e32 v22, v48, v22
	v_add_f16_e32 v6, v49, v6
	;; [unrolled: 1-line block ×4, first 2 shown]
	v_mul_f16_e32 v18, 0x3a52, v18
	v_mul_f16_e32 v19, 0x3a52, v19
	;; [unrolled: 1-line block ×8, first 2 shown]
	v_fmamk_f16 v12, v12, 0xbcab, v4
	v_fmamk_f16 v14, v14, 0xbcab, v34
	;; [unrolled: 1-line block ×4, first 2 shown]
	v_fma_f16 v42, v46, 0x39e0, -v42
	v_fma_f16 v43, v47, 0x39e0, -v43
	;; [unrolled: 1-line block ×4, first 2 shown]
	v_fmamk_f16 v46, v21, 0xb574, v48
	v_fmamk_f16 v47, v10, 0xb574, v49
	v_fma_f16 v21, v21, 0x3574, -v51
	v_fma_f16 v10, v10, 0x3574, -v52
	v_fma_f16 v33, v33, 0xbb00, -v48
	v_fma_f16 v8, v8, 0xbb00, -v49
	v_add_f16_e32 v20, v20, v12
	v_add_f16_e32 v32, v32, v14
	;; [unrolled: 1-line block ×6, first 2 shown]
	v_fmac_f16_e32 v46, 0xb70e, v22
	v_fmac_f16_e32 v47, 0xb70e, v6
	;; [unrolled: 1-line block ×6, first 2 shown]
	v_add_f16_e32 v6, v47, v20
	v_sub_f16_e32 v18, v32, v46
	v_add_f16_e32 v19, v10, v12
	v_sub_f16_e32 v22, v14, v21
	v_sub_f16_e32 v10, v12, v10
	v_add_f16_e32 v12, v21, v14
	v_sub_f16_e32 v14, v20, v47
	v_add_f16_e32 v20, v46, v32
	v_add_f16_e32 v21, v27, v28
	;; [unrolled: 1-line block ×3, first 2 shown]
	v_sub_f16_e32 v27, v27, v28
	v_sub_f16_e32 v7, v16, v7
	v_add_f16_e32 v16, v23, v17
	v_add_f16_e32 v28, v15, v9
	v_sub_f16_e32 v48, v42, v8
	v_add_f16_e32 v8, v8, v42
	v_sub_f16_e32 v17, v23, v17
	v_sub_f16_e32 v9, v15, v9
	v_add_f16_e32 v15, v31, v44
	v_add_f16_e32 v23, v13, v11
	v_sub_f16_e32 v31, v44, v31
	v_sub_f16_e32 v11, v11, v13
	v_add_f16_e32 v13, v16, v21
	v_add_f16_e32 v42, v28, v32
	v_lshrrev_b32_e32 v50, 16, v5
	v_add_f16_e32 v49, v33, v43
	v_sub_f16_e32 v33, v43, v33
	v_sub_f16_e32 v43, v16, v21
	;; [unrolled: 1-line block ×7, first 2 shown]
	v_add_f16_e32 v46, v31, v17
	v_add_f16_e32 v47, v11, v9
	v_sub_f16_e32 v51, v31, v17
	v_sub_f16_e32 v52, v11, v9
	v_add_f16_e32 v13, v15, v13
	v_add_f16_e32 v15, v23, v42
	v_sub_f16_e32 v17, v17, v27
	v_sub_f16_e32 v9, v9, v7
	;; [unrolled: 1-line block ×4, first 2 shown]
	v_add_f16_e32 v23, v46, v27
	v_add_f16_e32 v7, v47, v7
	;; [unrolled: 1-line block ×4, first 2 shown]
	v_mul_f16_e32 v21, 0x3a52, v21
	v_mul_f16_e32 v32, 0x3a52, v32
	;; [unrolled: 1-line block ×8, first 2 shown]
	v_fmamk_f16 v13, v13, 0xbcab, v5
	v_fmamk_f16 v15, v15, 0xbcab, v27
	;; [unrolled: 1-line block ×4, first 2 shown]
	v_fma_f16 v42, v43, 0x39e0, -v42
	v_fma_f16 v46, v44, 0x39e0, -v46
	;; [unrolled: 1-line block ×4, first 2 shown]
	v_fmamk_f16 v43, v31, 0xb574, v47
	v_fmamk_f16 v44, v11, 0xb574, v50
	v_fma_f16 v31, v31, 0x3574, -v51
	v_fma_f16 v11, v11, 0x3574, -v52
	;; [unrolled: 1-line block ×4, first 2 shown]
	v_add_f16_e32 v16, v16, v13
	v_add_f16_e32 v28, v28, v15
	v_fmac_f16_e32 v43, 0xb70e, v23
	v_fmac_f16_e32 v44, 0xb70e, v7
	v_add_f16_e32 v42, v42, v13
	v_add_f16_e32 v46, v46, v15
	;; [unrolled: 1-line block ×4, first 2 shown]
	v_fmac_f16_e32 v11, 0xb70e, v7
	v_fmac_f16_e32 v31, 0xb70e, v23
	;; [unrolled: 1-line block ×4, first 2 shown]
	v_add_f16_e32 v7, v44, v16
	v_sub_f16_e32 v21, v28, v43
	v_pack_b32_f16 v6, v6, v18
	v_add_f16_e32 v23, v11, v13
	v_sub_f16_e32 v32, v15, v31
	v_pack_b32_f16 v18, v19, v22
	v_sub_f16_e32 v47, v42, v9
	v_add_f16_e32 v50, v17, v46
	v_pack_b32_f16 v19, v48, v49
	v_add_f16_e32 v9, v9, v42
	v_sub_f16_e32 v17, v46, v17
	v_pack_b32_f16 v8, v8, v33
	v_sub_f16_e32 v11, v13, v11
	v_add_f16_e32 v13, v31, v15
	v_pack_b32_f16 v4, v4, v34
	v_pack_b32_f16 v10, v10, v12
	v_sub_f16_e32 v15, v16, v44
	v_add_f16_e32 v16, v43, v28
	v_pack_b32_f16 v12, v14, v20
	v_pack_b32_f16 v5, v5, v27
	ds_store_b32 v55, v6 offset:480
	ds_store_b32 v55, v18 offset:960
	;; [unrolled: 1-line block ×6, first 2 shown]
	ds_store_2addr_b32 v55, v4, v5 offset1:56
	v_pack_b32_f16 v4, v7, v21
	v_pack_b32_f16 v5, v23, v32
	;; [unrolled: 1-line block ×6, first 2 shown]
	ds_store_b32 v55, v4 offset:704
	ds_store_b32 v55, v5 offset:1184
	;; [unrolled: 1-line block ×6, first 2 shown]
	s_and_saveexec_b32 s1, s0
	s_cbranch_execz .LBB0_37
; %bb.36:
	v_mul_f16_e32 v6, v124, v41
	v_mul_f16_e64 v8, v122, v152
	v_mul_f16_e64 v9, v125, v156
	v_mul_f16_e32 v11, v124, v40
	v_mul_f16_e32 v13, v123, v38
	;; [unrolled: 1-line block ×3, first 2 shown]
	v_mul_f16_e64 v4, v54, v154
	v_mul_f16_e64 v5, v53, v153
	v_fmac_f16_e32 v6, v0, v40
	v_fmac_f16_e32 v8, v1, v35
	v_fma_f16 v9, v30, v157, -v9
	v_fma_f16 v0, v0, v41, -v11
	v_mul_f16_e32 v11, v53, v36
	v_mul_f16_e32 v15, v54, v37
	v_fma_f16 v13, v29, v155, -v13
	v_fma_f16 v1, v1, v152, -v14
	v_fmac_f16_e32 v4, v3, v37
	v_fmac_f16_e32 v5, v2, v36
	v_fma_f16 v2, v2, v153, -v11
	v_fma_f16 v3, v3, v154, -v15
	v_add_f16_e32 v11, v9, v0
	v_add_f16_e32 v14, v13, v1
	v_mul_f16_e64 v7, v125, v157
	v_mul_f16_e64 v12, v123, v155
	v_add_f16_e32 v16, v2, v3
	v_sub_f16_e32 v10, v4, v5
	v_add_f16_e32 v18, v14, v11
	v_fmac_f16_e64 v7, v30, v156
	v_fmac_f16_e32 v12, v29, v38
	v_sub_f16_e32 v20, v11, v16
	v_add_f16_e32 v4, v5, v4
	v_add_f16_e32 v18, v16, v18
	v_sub_f16_e32 v16, v16, v14
	v_sub_f16_e32 v17, v6, v7
	v_mul_f16_e32 v20, 0x3a52, v20
	v_add_f16_e32 v6, v7, v6
	v_add_f16_e32 v22, v45, v18
	;; [unrolled: 1-line block ×3, first 2 shown]
	v_sub_f16_e32 v2, v3, v2
	v_fmamk_f16 v27, v16, 0x2b26, v20
	v_sub_f16_e32 v1, v1, v13
	v_fmamk_f16 v18, v18, 0xbcab, v22
	v_sub_f16_e32 v0, v0, v9
	v_sub_f16_e32 v15, v8, v12
	v_add_f16_e32 v12, v7, v6
	v_sub_f16_e32 v3, v6, v4
	v_add_f16_e32 v5, v27, v18
	v_sub_f16_e32 v9, v2, v1
	v_sub_f16_e32 v27, v0, v2
	v_add_f16_e32 v2, v2, v1
	v_sub_f16_e32 v19, v10, v15
	v_add_f16_e32 v12, v4, v12
	;; [unrolled: 2-line block ×3, first 2 shown]
	v_mul_f16_e32 v3, 0x3a52, v3
	v_sub_f16_e32 v4, v4, v7
	v_sub_f16_e32 v15, v15, v17
	v_add_f16_e32 v2, v2, v0
	v_sub_f16_e32 v0, v1, v0
	v_mul_f16_e32 v19, 0x3846, v19
	v_mul_f16_e32 v8, 0x2b26, v16
	v_add_f16_e32 v16, v39, v12
	v_mul_f16_e32 v9, 0x3846, v9
	v_sub_f16_e32 v11, v14, v11
	v_add_f16_e32 v10, v10, v17
	v_fmamk_f16 v17, v4, 0x2b26, v3
	v_mul_f16_e32 v29, 0xbb00, v15
	v_mul_f16_e32 v4, 0x2b26, v4
	v_sub_f16_e32 v6, v7, v6
	v_mul_f16_e32 v7, 0xbb00, v0
	v_fmamk_f16 v23, v21, 0xb574, v19
	v_fmamk_f16 v12, v12, 0xbcab, v16
	;; [unrolled: 1-line block ×3, first 2 shown]
	v_fma_f16 v20, v11, 0xb9e0, -v20
	v_fma_f16 v8, v11, 0x39e0, -v8
	;; [unrolled: 1-line block ×8, first 2 shown]
	v_fmac_f16_e32 v23, 0xb70e, v10
	v_add_f16_e32 v17, v17, v12
	v_fmac_f16_e32 v28, 0xb70e, v2
	v_add_f16_e32 v8, v8, v18
	v_fmac_f16_e32 v11, 0xb70e, v10
	v_fmac_f16_e32 v1, 0xb70e, v10
	v_add_f16_e32 v15, v20, v18
	v_add_f16_e32 v3, v3, v12
	v_fmac_f16_e32 v7, 0xb70e, v2
	v_fmac_f16_e32 v0, 0xb70e, v2
	v_add_f16_e32 v2, v4, v12
	v_add_f16_e32 v13, v23, v5
	v_sub_f16_e32 v10, v8, v11
	v_add_f16_e32 v4, v11, v8
	v_sub_f16_e32 v5, v5, v23
	v_add_f16_e32 v8, v28, v17
	v_add_f16_e32 v6, v1, v15
	v_sub_f16_e32 v9, v3, v7
	v_sub_f16_e32 v1, v15, v1
	v_add_f16_e32 v3, v7, v3
	v_sub_f16_e32 v7, v2, v0
	v_add_f16_e32 v0, v0, v2
	v_sub_f16_e32 v14, v17, v28
	v_pack_b32_f16 v2, v16, v22
	v_pack_b32_f16 v5, v8, v5
	;; [unrolled: 1-line block ×4, first 2 shown]
	v_add_nc_u32_e32 v4, 0x400, v55
	v_pack_b32_f16 v0, v0, v10
	v_pack_b32_f16 v6, v9, v6
	v_add_nc_u32_e32 v7, 0x800, v55
	v_pack_b32_f16 v8, v14, v13
	ds_store_2addr_b32 v55, v2, v5 offset0:112 offset1:232
	ds_store_2addr_b32 v4, v1, v3 offset0:96 offset1:216
	;; [unrolled: 1-line block ×3, first 2 shown]
	ds_store_b32 v55, v8 offset:3328
.LBB0_37:
	s_wait_alu 0xfffe
	s_or_b32 exec_lo, exec_lo, s1
	v_mad_co_u64_u32 v[16:17], null, s10, v26, 0
	v_add_nc_u32_e32 v0, 0x400, v55
	global_wb scope:SCOPE_SE
	s_wait_dscnt 0x0
	s_barrier_signal -1
	s_barrier_wait -1
	global_inv scope:SCOPE_SE
	ds_load_2addr_b32 v[0:1], v0 offset0:80 offset1:164
	ds_load_2addr_b32 v[2:3], v55 offset1:56
	s_mov_b32 s6, 0x13813814
	s_mov_b32 s7, 0x3f538138
	v_mad_co_u64_u32 v[18:19], null, s8, v77, 0
	s_wait_dscnt 0x1
	v_lshrrev_b32_e32 v8, 16, v1
	v_mul_f16_e32 v7, v83, v1
	s_wait_dscnt 0x0
	v_lshrrev_b32_e32 v4, 16, v2
	v_mul_f16_e32 v5, v84, v2
	v_lshrrev_b32_e32 v14, 16, v3
	v_mul_f16_e32 v12, v83, v8
	v_fma_f16 v9, v81, v8, -v7
	v_mul_f16_e32 v6, v84, v4
	v_fma_f16 v4, v80, v4, -v5
	s_delay_alu instid0(VALU_DEP_4) | instskip(NEXT) | instid1(VALU_DEP_4)
	v_fmac_f16_e32 v12, v81, v1
	v_cvt_f32_f16_e32 v9, v9
	s_delay_alu instid0(VALU_DEP_4) | instskip(NEXT) | instid1(VALU_DEP_4)
	v_fmac_f16_e32 v6, v80, v2
	v_cvt_f32_f16_e32 v2, v4
	s_delay_alu instid0(VALU_DEP_4) | instskip(NEXT) | instid1(VALU_DEP_4)
	v_cvt_f32_f16_e32 v1, v12
	v_cvt_f64_f32_e32 v[8:9], v9
	s_delay_alu instid0(VALU_DEP_4) | instskip(NEXT) | instid1(VALU_DEP_4)
	v_cvt_f32_f16_e32 v6, v6
	v_cvt_f64_f32_e32 v[4:5], v2
	v_mul_f16_e32 v2, v82, v14
	v_cvt_f64_f32_e32 v[12:13], v1
	s_delay_alu instid0(VALU_DEP_4) | instskip(NEXT) | instid1(VALU_DEP_3)
	v_cvt_f64_f32_e32 v[6:7], v6
	v_fmac_f16_e32 v2, v79, v3
	s_delay_alu instid0(VALU_DEP_1) | instskip(NEXT) | instid1(VALU_DEP_1)
	v_cvt_f32_f16_e32 v2, v2
	v_cvt_f64_f32_e32 v[10:11], v2
	v_mul_f16_e32 v2, v82, v3
	s_delay_alu instid0(VALU_DEP_1) | instskip(SKIP_1) | instid1(VALU_DEP_2)
	v_fma_f16 v1, v79, v14, -v2
	v_add_nc_u32_e32 v2, 0x600, v55
	v_cvt_f32_f16_e32 v3, v1
	s_delay_alu instid0(VALU_DEP_1)
	v_cvt_f64_f32_e32 v[14:15], v3
	s_wait_alu 0xfffe
	v_mul_f64_e32 v[8:9], s[6:7], v[8:9]
	v_mul_f64_e32 v[3:4], s[6:7], v[4:5]
	v_mul_f64_e32 v[12:13], s[6:7], v[12:13]
	v_mul_f64_e32 v[5:6], s[6:7], v[6:7]
	v_mov_b32_e32 v7, v17
	v_mov_b32_e32 v17, v19
	ds_load_2addr_b32 v[1:2], v2 offset0:92 offset1:148
	v_mul_f64_e32 v[10:11], s[6:7], v[10:11]
	v_mul_f64_e32 v[14:15], s[6:7], v[14:15]
	v_mad_co_u64_u32 v[19:20], null, s11, v26, v[7:8]
	s_wait_dscnt 0x0
	v_lshrrev_b32_e32 v7, 16, v1
	v_mad_co_u64_u32 v[20:21], null, s9, v77, v[17:18]
	v_bfe_u32 v30, v9, 20, 11
	v_and_or_b32 v3, 0x1ff, v4, v3
	s_delay_alu instid0(VALU_DEP_4)
	v_mul_f16_e32 v21, v78, v7
	v_mov_b32_e32 v17, v19
	v_bfe_u32 v34, v13, 20, 11
	v_sub_nc_u32_e32 v35, 0x3f1, v30
	v_add_nc_u32_e32 v30, 0xfffffc10, v30
	v_fmac_f16_e32 v21, v76, v1
	v_lshlrev_b64_e32 v[16:17], 2, v[16:17]
	v_mov_b32_e32 v19, v20
	v_and_or_b32 v5, 0x1ff, v6, v5
	v_and_or_b32 v8, 0x1ff, v9, v8
	v_cvt_f32_f16_e32 v20, v21
	v_and_or_b32 v10, 0x1ff, v11, v10
	v_add_co_u32 v21, s0, s4, v16
	s_wait_alu 0xf1ff
	v_add_co_ci_u32_e64 v22, s0, s5, v17, s0
	v_cmp_ne_u32_e64 s0, 0, v3
	v_cvt_f64_f32_e32 v[16:17], v20
	v_lshrrev_b32_e32 v20, 8, v4
	v_bfe_u32 v23, v4, 20, 11
	v_bfe_u32 v27, v6, 20, 11
	s_wait_alu 0xf1ff
	v_cndmask_b32_e64 v3, 0, 1, s0
	v_cmp_ne_u32_e64 s0, 0, v5
	v_lshrrev_b32_e32 v26, 8, v6
	v_sub_nc_u32_e32 v28, 0x3f1, v23
	v_add_nc_u32_e32 v23, 0xfffffc10, v23
	v_and_or_b32 v3, 0xffe, v20, v3
	s_wait_alu 0xf1ff
	v_cndmask_b32_e64 v5, 0, 1, s0
	v_cmp_ne_u32_e64 s0, 0, v8
	v_sub_nc_u32_e32 v33, 0x3f1, v27
	v_and_or_b32 v12, 0x1ff, v13, v12
	v_lshl_or_b32 v36, v23, 12, v3
	v_and_or_b32 v5, 0xffe, v26, v5
	s_wait_alu 0xf1ff
	v_cndmask_b32_e64 v8, 0, 1, s0
	v_cmp_ne_u32_e64 s0, 0, v10
	v_med3_i32 v26, v33, 0, 13
	v_or_b32_e32 v33, 0x1000, v3
	v_lshrrev_b32_e32 v29, 8, v9
	v_lshrrev_b32_e32 v31, 8, v11
	s_wait_alu 0xf1ff
	v_cndmask_b32_e64 v10, 0, 1, s0
	v_cmp_ne_u32_e64 s0, 0, v3
	v_med3_i32 v20, v28, 0, 13
	v_lshrrev_b32_e32 v28, 8, v13
	v_add_nc_u32_e32 v27, 0xfffffc10, v27
	v_sub_nc_u32_e32 v37, 0x3f1, v34
	v_add_nc_u32_e32 v34, 0xfffffc10, v34
	s_wait_alu 0xf1ff
	v_cndmask_b32_e64 v3, 0, 1, s0
	v_cmp_ne_u32_e64 s0, 0, v12
	v_and_or_b32 v8, 0xffe, v29, v8
	v_and_or_b32 v31, 0xffe, v31, v10
	v_or_b32_e32 v10, 0x1000, v5
	v_lshrrev_b32_e32 v38, v20, v33
	s_wait_alu 0xf1ff
	v_cndmask_b32_e64 v12, 0, 1, s0
	v_cmp_ne_u32_e64 s0, 0, v5
	v_med3_i32 v29, v35, 0, 13
	v_lshl_or_b32 v35, v27, 12, v5
	v_lshrrev_b32_e32 v40, v26, v10
	v_and_or_b32 v12, 0xffe, v28, v12
	s_wait_alu 0xf1ff
	v_cndmask_b32_e64 v5, 0, 1, s0
	v_med3_i32 v28, v37, 0, 13
	v_or_b32_e32 v37, 0x1000, v8
	v_lshlrev_b32_e32 v20, v20, v38
	v_cmp_ne_u32_e64 s0, 0, v12
	v_or_b32_e32 v41, 0x1000, v12
	v_lshl_or_b32 v42, v34, 12, v12
	v_lshrrev_b32_e32 v43, v29, v37
	v_lshlrev_b32_e32 v26, v26, v40
	s_wait_alu 0xf1ff
	v_cndmask_b32_e64 v12, 0, 1, s0
	v_cmp_ne_u32_e64 s0, v20, v33
	v_lshrrev_b32_e32 v33, v28, v41
	v_lshlrev_b32_e32 v29, v29, v43
	v_lshl_or_b32 v39, v30, 12, v8
	v_cmp_gt_i32_e64 s4, 1, v34
	s_wait_alu 0xf1ff
	v_cndmask_b32_e64 v20, 0, 1, s0
	v_cmp_ne_u32_e64 s0, v26, v10
	v_lshlrev_b32_e32 v26, v28, v33
	v_lshl_or_b32 v5, v5, 9, 0x7c00
	v_lshl_or_b32 v3, v3, 9, 0x7c00
	v_or_b32_e32 v20, v38, v20
	s_wait_alu 0xf1ff
	v_cndmask_b32_e64 v10, 0, 1, s0
	v_cmp_ne_u32_e64 s0, v29, v37
	v_lshrrev_b32_e32 v6, 16, v6
	v_lshrrev_b32_e32 v4, 16, v4
	v_lshl_or_b32 v12, v12, 9, 0x7c00
	v_or_b32_e32 v10, v40, v10
	s_wait_alu 0xf1ff
	v_cndmask_b32_e64 v28, 0, 1, s0
	v_cmp_gt_i32_e64 s0, 1, v23
	v_bfe_u32 v32, v11, 20, 11
	v_lshrrev_b32_e32 v13, 16, v13
	v_mul_f16_e32 v1, v78, v1
	v_or_b32_e32 v28, v43, v28
	s_wait_alu 0xf1ff
	v_cndmask_b32_e64 v20, v36, v20, s0
	v_cmp_ne_u32_e64 s0, v26, v41
	v_lshrrev_b32_e32 v9, 16, v9
	v_fma_f16 v1, v76, v7, -v1
	v_lshrrev_b32_e32 v11, 16, v11
	v_and_b32_e32 v29, 7, v20
	s_wait_alu 0xf1ff
	v_cndmask_b32_e64 v26, 0, 1, s0
	v_cmp_gt_i32_e64 s0, 1, v27
	v_lshrrev_b32_e32 v20, 2, v20
	v_cvt_f32_f16_e32 v1, v1
	v_cmp_eq_u32_e64 s3, 3, v29
	v_or_b32_e32 v26, v33, v26
	s_wait_alu 0xf1ff
	v_cndmask_b32_e64 v10, v35, v10, s0
	v_cmp_gt_i32_e64 s0, 1, v30
	s_delay_alu instid0(VALU_DEP_3) | instskip(NEXT) | instid1(VALU_DEP_3)
	v_cndmask_b32_e64 v26, v42, v26, s4
	v_and_b32_e32 v33, 7, v10
	s_wait_alu 0xf1ff
	s_delay_alu instid0(VALU_DEP_3) | instskip(SKIP_4) | instid1(VALU_DEP_4)
	v_cndmask_b32_e64 v28, v39, v28, s0
	v_cmp_lt_i32_e64 s0, 5, v29
	v_lshrrev_b32_e32 v10, 2, v10
	v_cmp_lt_i32_e64 s1, 5, v33
	v_cmp_eq_u32_e64 s2, 3, v33
	s_or_b32 s0, s3, s0
	v_and_b32_e32 v33, 7, v26
	s_wait_alu 0xfffe
	v_add_co_ci_u32_e64 v20, s0, 0, v20, s0
	s_or_b32 s1, s2, s1
	v_cmp_gt_i32_e64 s0, 31, v27
	s_wait_alu 0xfffe
	v_add_co_ci_u32_e64 v10, s1, 0, v10, s1
	v_cmp_eq_u32_e64 s2, 0x40f, v27
	v_cmp_eq_u32_e64 s1, 3, v33
	v_lshrrev_b32_e32 v26, 2, v26
	s_wait_alu 0xf1ff
	v_cndmask_b32_e64 v10, 0x7c00, v10, s0
	v_cmp_gt_i32_e64 s0, 31, v23
	v_and_b32_e32 v29, 7, v28
	s_delay_alu instid0(VALU_DEP_3) | instskip(SKIP_1) | instid1(VALU_DEP_3)
	v_cndmask_b32_e64 v5, v10, v5, s2
	s_wait_alu 0xf1ff
	v_cndmask_b32_e64 v20, 0x7c00, v20, s0
	v_cmp_lt_i32_e64 s0, 5, v33
	v_cmp_eq_u32_e64 s2, 0x40f, v23
	v_and_or_b32 v5, 0x8000, v6, v5
	v_lshrrev_b32_e32 v6, 2, v28
	s_delay_alu instid0(VALU_DEP_4) | instskip(NEXT) | instid1(VALU_DEP_3)
	s_or_b32 s0, s1, s0
	v_cndmask_b32_e64 v3, v20, v3, s2
	s_wait_alu 0xfffe
	v_add_co_ci_u32_e64 v10, s0, 0, v26, s0
	v_cmp_gt_i32_e64 s0, 31, v34
	v_cmp_eq_u32_e64 s1, 3, v29
	v_and_or_b32 v3, 0x8000, v4, v3
	v_cmp_eq_u32_e64 s2, 0x40f, v34
	v_and_b32_e32 v5, 0xffff, v5
	s_wait_alu 0xf1ff
	v_cndmask_b32_e64 v4, 0x7c00, v10, s0
	v_cmp_lt_i32_e64 s0, 5, v29
	s_delay_alu instid0(VALU_DEP_3) | instskip(NEXT) | instid1(VALU_DEP_3)
	v_lshl_or_b32 v20, v3, 16, v5
	v_cndmask_b32_e64 v10, v4, v12, s2
	s_delay_alu instid0(VALU_DEP_3)
	s_or_b32 s0, s1, s0
	v_sub_nc_u32_e32 v3, 0x3f1, v32
	s_wait_alu 0xfffe
	v_add_co_ci_u32_e64 v4, s0, 0, v6, s0
	v_cmp_ne_u32_e64 s0, 0, v8
	v_or_b32_e32 v6, 0x1000, v31
	v_med3_i32 v8, v3, 0, 13
	v_and_or_b32 v10, 0x8000, v13, v10
	s_mul_u64 s[2:3], s[8:9], 0x1a4
	v_cndmask_b32_e64 v5, 0, 1, s0
	v_cmp_gt_i32_e64 s0, 31, v30
	s_wait_alu 0xfffe
	s_lshl_b64 s[4:5], s[2:3], 2
	s_delay_alu instid0(VALU_DEP_2) | instskip(NEXT) | instid1(VALU_DEP_2)
	v_lshl_or_b32 v5, v5, 9, 0x7c00
	v_cndmask_b32_e64 v12, 0x7c00, v4, s0
	v_lshlrev_b64_e32 v[3:4], 2, v[18:19]
	v_lshrrev_b32_e32 v18, v8, v6
	v_cmp_eq_u32_e64 s0, 0x40f, v30
	v_lshrrev_b32_e32 v19, 8, v15
	s_delay_alu instid0(VALU_DEP_3) | instskip(SKIP_1) | instid1(VALU_DEP_3)
	v_lshlrev_b32_e32 v8, v8, v18
	s_wait_alu 0xf1ff
	v_cndmask_b32_e64 v5, v12, v5, s0
	v_add_co_u32 v3, s0, v21, v3
	s_wait_alu 0xf1ff
	v_add_co_ci_u32_e64 v4, s0, v22, v4, s0
	v_cmp_ne_u32_e64 s0, v8, v6
	v_and_or_b32 v8, 0x1ff, v15, v14
	v_and_or_b32 v5, 0x8000, v9, v5
	v_and_b32_e32 v9, 0xffff, v10
	s_wait_alu 0xf1ff
	v_cndmask_b32_e64 v6, 0, 1, s0
	v_cmp_ne_u32_e64 s0, 0, v8
	v_cvt_f64_f32_e32 v[7:8], v1
	v_lshl_or_b32 v14, v5, 16, v9
	ds_load_2addr_b32 v[9:10], v55 offset0:112 offset1:168
	v_or_b32_e32 v12, v18, v6
	v_mul_f64_e32 v[5:6], s[6:7], v[16:17]
	s_wait_alu 0xf1ff
	v_cndmask_b32_e64 v13, 0, 1, s0
	v_bfe_u32 v16, v15, 20, 11
	v_add_nc_u32_e32 v18, 0xfffffc10, v32
	v_lshrrev_b32_e32 v15, 16, v15
	s_delay_alu instid0(VALU_DEP_4) | instskip(NEXT) | instid1(VALU_DEP_4)
	v_and_or_b32 v1, 0xffe, v19, v13
	v_sub_nc_u32_e32 v13, 0x3f1, v16
	s_delay_alu instid0(VALU_DEP_4)
	v_lshl_or_b32 v17, v18, 12, v31
	v_cmp_gt_i32_e64 s0, 1, v18
	v_add_nc_u32_e32 v16, 0xfffffc10, v16
	v_or_b32_e32 v19, 0x1000, v1
	v_med3_i32 v21, v13, 0, 13
	s_wait_alu 0xf1ff
	v_cndmask_b32_e64 v17, v17, v12, s0
	s_wait_alu 0xfffe
	v_add_co_u32 v12, s0, v3, s4
	v_lshrrev_b32_e32 v22, v21, v19
	s_wait_alu 0xf1ff
	v_add_co_ci_u32_e64 v13, s0, s5, v4, s0
	v_and_b32_e32 v23, 7, v17
	s_clause 0x1
	global_store_b32 v[3:4], v20, off
	global_store_b32 v[12:13], v14, off
	v_lshlrev_b32_e32 v3, v21, v22
	v_lshrrev_b32_e32 v4, 2, v17
	v_cmp_lt_i32_e64 s0, 5, v23
	v_cmp_eq_u32_e64 s1, 3, v23
	s_wait_dscnt 0x0
	v_lshrrev_b32_e32 v14, 16, v9
	v_cmp_ne_u32_e64 s2, v3, v19
	s_delay_alu instid0(VALU_DEP_3) | instskip(NEXT) | instid1(VALU_DEP_2)
	s_or_b32 s0, s1, s0
	v_mul_f16_e32 v17, v75, v14
	s_wait_alu 0xfffe
	v_add_co_ci_u32_e64 v19, s0, 0, v4, s0
	v_cndmask_b32_e64 v3, 0, 1, s2
	v_cmp_ne_u32_e64 s0, 0, v31
	v_lshl_or_b32 v4, v16, 12, v1
	v_and_or_b32 v5, 0x1ff, v6, v5
	v_fmac_f16_e32 v17, v73, v9
	v_or_b32_e32 v3, v22, v3
	s_wait_alu 0xf1ff
	v_cndmask_b32_e64 v20, 0, 1, s0
	v_cmp_gt_i32_e64 s0, 1, v16
	v_bfe_u32 v22, v6, 20, 11
	v_cvt_f32_f16_e32 v17, v17
	v_cmp_eq_u32_e64 s2, 0x40f, v18
	v_lshl_or_b32 v20, v20, 9, 0x7c00
	s_wait_alu 0xf1ff
	v_cndmask_b32_e64 v21, v4, v3, s0
	v_mul_f64_e32 v[3:4], s[6:7], v[7:8]
	v_cmp_ne_u32_e64 s0, 0, v5
	v_cvt_f64_f32_e32 v[7:8], v17
	v_lshrrev_b32_e32 v17, 8, v6
	v_and_b32_e32 v23, 7, v21
	v_mul_f16_e32 v9, v75, v9
	s_wait_alu 0xf1ff
	v_cndmask_b32_e64 v5, 0, 1, s0
	v_cmp_gt_i32_e64 s0, 31, v18
	v_lshrrev_b32_e32 v6, 16, v6
	v_cmp_eq_u32_e64 s1, 3, v23
	v_fma_f16 v9, v73, v14, -v9
	v_and_or_b32 v5, 0xffe, v17, v5
	s_wait_alu 0xf1ff
	v_cndmask_b32_e64 v19, 0x7c00, v19, s0
	v_sub_nc_u32_e32 v17, 0x3f1, v22
	v_cmp_lt_i32_e64 s0, 5, v23
	v_cvt_f32_f16_e32 v9, v9
	v_or_b32_e32 v23, 0x1000, v5
	v_cndmask_b32_e64 v18, v19, v20, s2
	v_lshrrev_b32_e32 v19, 2, v21
	v_med3_i32 v17, v17, 0, 13
	s_or_b32 s0, s1, s0
	v_add_nc_u32_e32 v21, 0xfffffc10, v22
	v_and_or_b32 v11, 0x8000, v11, v18
	s_wait_alu 0xfffe
	v_add_co_ci_u32_e64 v19, s0, 0, v19, s0
	v_lshrrev_b32_e32 v20, v17, v23
	v_cmp_ne_u32_e64 s0, 0, v1
	v_and_b32_e32 v11, 0xffff, v11
	s_delay_alu instid0(VALU_DEP_3) | instskip(SKIP_1) | instid1(VALU_DEP_3)
	v_lshlrev_b32_e32 v17, v17, v20
	s_wait_alu 0xf1ff
	v_cndmask_b32_e64 v1, 0, 1, s0
	v_cmp_gt_i32_e64 s0, 31, v16
	s_delay_alu instid0(VALU_DEP_2) | instskip(SKIP_1) | instid1(VALU_DEP_2)
	v_lshl_or_b32 v1, v1, 9, 0x7c00
	s_wait_alu 0xf1ff
	v_cndmask_b32_e64 v19, 0x7c00, v19, s0
	v_cmp_ne_u32_e64 s0, v17, v23
	v_and_or_b32 v3, 0x1ff, v4, v3
	v_mul_f64_e32 v[7:8], s[6:7], v[7:8]
	s_wait_alu 0xf1ff
	s_delay_alu instid0(VALU_DEP_3) | instskip(SKIP_3) | instid1(VALU_DEP_4)
	v_cndmask_b32_e64 v14, 0, 1, s0
	v_cmp_eq_u32_e64 s0, 0x40f, v16
	v_cvt_f64_f32_e32 v[16:17], v9
	v_lshrrev_b32_e32 v9, 8, v4
	v_or_b32_e32 v14, v20, v14
	s_wait_alu 0xf1ff
	v_cndmask_b32_e64 v1, v19, v1, s0
	v_cmp_ne_u32_e64 s0, 0, v3
	v_bfe_u32 v20, v4, 20, 11
	v_lshl_or_b32 v19, v21, 12, v5
	s_delay_alu instid0(VALU_DEP_4) | instskip(SKIP_3) | instid1(VALU_DEP_3)
	v_and_or_b32 v1, 0x8000, v15, v1
	s_wait_alu 0xf1ff
	v_cndmask_b32_e64 v3, 0, 1, s0
	v_cmp_gt_i32_e64 s0, 1, v21
	v_lshl_or_b32 v11, v1, 16, v11
	s_delay_alu instid0(VALU_DEP_3)
	v_and_or_b32 v3, 0xffe, v9, v3
	v_sub_nc_u32_e32 v9, 0x3f1, v20
	s_wait_alu 0xf1ff
	v_cndmask_b32_e64 v14, v19, v14, s0
	s_movk_i32 s0, 0xfe94
	s_mov_b32 s1, -1
	v_or_b32_e32 v18, 0x1000, v3
	v_med3_i32 v9, v9, 0, 13
	v_and_b32_e32 v15, 7, v14
	s_wait_alu 0xfffe
	s_mul_u64 s[2:3], s[8:9], s[0:1]
	v_lshrrev_b32_e32 v1, 2, v14
	s_wait_alu 0xfffe
	s_lshl_b64 s[8:9], s[2:3], 2
	v_lshrrev_b32_e32 v19, v9, v18
	v_cmp_lt_i32_e64 s0, 5, v15
	v_cmp_eq_u32_e64 s1, 3, v15
	s_delay_alu instid0(VALU_DEP_3) | instskip(NEXT) | instid1(VALU_DEP_2)
	v_lshlrev_b32_e32 v9, v9, v19
	s_or_b32 s0, s1, s0
	v_and_or_b32 v7, 0x1ff, v8, v7
	s_wait_alu 0xfffe
	v_add_co_ci_u32_e64 v1, s0, 0, v1, s0
	v_cmp_ne_u32_e64 s0, v9, v18
	v_add_nc_u32_e32 v18, 0xfffffc10, v20
	v_lshrrev_b32_e32 v20, 16, v2
	v_mul_f64_e32 v[14:15], s[6:7], v[16:17]
	v_lshrrev_b32_e32 v17, 8, v8
	s_wait_alu 0xf1ff
	v_cndmask_b32_e64 v9, 0, 1, s0
	v_cmp_gt_i32_e64 s0, 31, v21
	v_mul_f16_e32 v16, v74, v20
	s_delay_alu instid0(VALU_DEP_3) | instskip(SKIP_1) | instid1(VALU_DEP_3)
	v_or_b32_e32 v9, v19, v9
	s_wait_alu 0xf1ff
	v_cndmask_b32_e64 v1, 0x7c00, v1, s0
	v_cmp_ne_u32_e64 s0, 0, v5
	v_lshl_or_b32 v19, v18, 12, v3
	v_fmac_f16_e32 v16, v72, v2
	v_mul_f16_e32 v2, v74, v2
	s_wait_alu 0xf1ff
	v_cndmask_b32_e64 v5, 0, 1, s0
	v_cmp_gt_i32_e64 s0, 1, v18
	v_cvt_f32_f16_e32 v16, v16
	v_fma_f16 v2, v72, v20, -v2
	s_delay_alu instid0(VALU_DEP_4) | instskip(SKIP_4) | instid1(VALU_DEP_3)
	v_lshl_or_b32 v5, v5, 9, 0x7c00
	s_wait_alu 0xf1ff
	v_cndmask_b32_e64 v9, v19, v9, s0
	v_cmp_ne_u32_e64 s0, 0, v7
	v_bfe_u32 v19, v8, 20, 11
	v_and_b32_e32 v22, 7, v9
	s_wait_alu 0xf1ff
	s_delay_alu instid0(VALU_DEP_3) | instskip(NEXT) | instid1(VALU_DEP_3)
	v_cndmask_b32_e64 v7, 0, 1, s0
	v_sub_nc_u32_e32 v23, 0x3f1, v19
	v_cmp_eq_u32_e64 s0, 0x40f, v21
	v_lshrrev_b32_e32 v9, 2, v9
	v_cmp_eq_u32_e64 s1, 3, v22
	v_and_or_b32 v7, 0xffe, v17, v7
	v_med3_i32 v21, v23, 0, 13
	s_wait_alu 0xf1ff
	v_cndmask_b32_e64 v1, v1, v5, s0
	v_cvt_f64_f32_e32 v[16:17], v16
	v_cmp_lt_i32_e64 s0, 5, v22
	v_or_b32_e32 v5, 0x1000, v7
	v_add_nc_u32_e32 v19, 0xfffffc10, v19
	s_delay_alu instid0(VALU_DEP_3) | instskip(NEXT) | instid1(VALU_DEP_2)
	s_or_b32 s0, s1, s0
	v_lshrrev_b32_e32 v22, v21, v5
	s_wait_alu 0xfffe
	v_add_co_ci_u32_e64 v9, s0, 0, v9, s0
	v_cmp_gt_i32_e64 s0, 31, v18
	s_delay_alu instid0(VALU_DEP_3)
	v_lshlrev_b32_e32 v20, v21, v22
	v_and_or_b32 v21, 0x8000, v6, v1
	v_cvt_f32_f16_e32 v1, v2
	s_wait_alu 0xf1ff
	v_cndmask_b32_e64 v9, 0x7c00, v9, s0
	v_and_or_b32 v6, 0x1ff, v15, v14
	v_cmp_ne_u32_e64 s0, v20, v5
	v_lshl_or_b32 v14, v19, 12, v7
	v_cvt_f64_f32_e32 v[1:2], v1
	v_lshrrev_b32_e32 v20, 8, v15
	s_wait_alu 0xf1ff
	v_cndmask_b32_e64 v5, 0, 1, s0
	v_cmp_ne_u32_e64 s0, 0, v3
	s_delay_alu instid0(VALU_DEP_2) | instskip(SKIP_1) | instid1(VALU_DEP_2)
	v_or_b32_e32 v5, v22, v5
	s_wait_alu 0xf1ff
	v_cndmask_b32_e64 v3, 0, 1, s0
	v_cmp_ne_u32_e64 s0, 0, v6
	v_bfe_u32 v22, v15, 20, 11
	v_lshrrev_b32_e32 v15, 16, v15
	s_delay_alu instid0(VALU_DEP_4) | instskip(SKIP_4) | instid1(VALU_DEP_3)
	v_lshl_or_b32 v3, v3, 9, 0x7c00
	s_wait_alu 0xf1ff
	v_cndmask_b32_e64 v6, 0, 1, s0
	v_cmp_gt_i32_e64 s0, 1, v19
	v_sub_nc_u32_e32 v23, 0x3f1, v22
	v_and_or_b32 v20, 0xffe, v20, v6
	s_wait_alu 0xf1ff
	s_delay_alu instid0(VALU_DEP_3)
	v_cndmask_b32_e64 v14, v14, v5, s0
	v_cmp_eq_u32_e64 s0, 0x40f, v18
	v_mul_f64_e32 v[5:6], s[6:7], v[16:17]
	v_lshrrev_b32_e32 v16, 16, v4
	v_or_b32_e32 v18, 0x1000, v20
	v_med3_i32 v23, v23, 0, 13
	s_wait_alu 0xf1ff
	v_cndmask_b32_e64 v9, v9, v3, s0
	v_and_b32_e32 v17, 7, v14
	v_add_co_u32 v3, s0, v12, s8
	s_wait_alu 0xf1ff
	v_add_co_ci_u32_e64 v4, s0, s9, v13, s0
	v_and_or_b32 v9, 0x8000, v16, v9
	v_and_b32_e32 v12, 0xffff, v21
	v_lshrrev_b32_e32 v13, v23, v18
	v_cmp_lt_i32_e64 s0, 5, v17
	v_cmp_eq_u32_e64 s1, 3, v17
	global_store_b32 v[3:4], v11, off
	v_lshrrev_b32_e32 v11, 2, v14
	v_lshl_or_b32 v16, v9, 16, v12
	v_lshlrev_b32_e32 v9, v23, v13
	s_or_b32 s0, s1, s0
	v_mul_f64_e32 v[1:2], s[6:7], v[1:2]
	s_wait_alu 0xfffe
	v_add_co_ci_u32_e64 v11, s0, 0, v11, s0
	v_cmp_ne_u32_e64 s0, v9, v18
	v_add_nc_u32_e32 v14, 0xfffffc10, v22
	v_lshrrev_b32_e32 v12, 16, v10
	s_wait_alu 0xf1ff
	s_delay_alu instid0(VALU_DEP_3) | instskip(SKIP_1) | instid1(VALU_DEP_3)
	v_cndmask_b32_e64 v9, 0, 1, s0
	v_cmp_ne_u32_e64 s0, 0, v7
	v_mul_f16_e32 v17, v71, v12
	s_delay_alu instid0(VALU_DEP_3) | instskip(SKIP_1) | instid1(VALU_DEP_3)
	v_or_b32_e32 v9, v13, v9
	s_wait_alu 0xf1ff
	v_cndmask_b32_e64 v7, 0, 1, s0
	v_cmp_gt_i32_e64 s0, 31, v19
	v_lshl_or_b32 v13, v14, 12, v20
	v_fmac_f16_e32 v17, v69, v10
	v_and_or_b32 v5, 0x1ff, v6, v5
	v_lshl_or_b32 v7, v7, 9, 0x7c00
	s_wait_alu 0xf1ff
	v_cndmask_b32_e64 v11, 0x7c00, v11, s0
	v_cmp_gt_i32_e64 s0, 1, v14
	v_mul_f16_e32 v10, v71, v10
	s_wait_alu 0xf1ff
	s_delay_alu instid0(VALU_DEP_2)
	v_cndmask_b32_e64 v9, v13, v9, s0
	v_cmp_eq_u32_e64 s0, 0x40f, v19
	v_lshrrev_b32_e32 v13, 16, v8
	v_bfe_u32 v19, v6, 20, 11
	v_fma_f16 v10, v69, v12, -v10
	v_and_b32_e32 v18, 7, v9
	s_wait_alu 0xf1ff
	v_cndmask_b32_e64 v11, v11, v7, s0
	v_cvt_f32_f16_e32 v7, v17
	v_cmp_ne_u32_e64 s0, 0, v5
	v_lshrrev_b32_e32 v17, 8, v6
	v_cmp_eq_u32_e64 s1, 3, v18
	v_lshrrev_b32_e32 v9, 2, v9
	v_cvt_f64_f32_e32 v[7:8], v7
	s_wait_alu 0xf1ff
	v_cndmask_b32_e64 v5, 0, 1, s0
	v_add_co_u32 v3, s0, v3, s4
	s_wait_alu 0xf1ff
	v_add_co_ci_u32_e64 v4, s0, s5, v4, s0
	v_cmp_lt_i32_e64 s0, 5, v18
	v_and_or_b32 v13, 0x8000, v13, v11
	v_and_or_b32 v5, 0xffe, v17, v5
	v_sub_nc_u32_e32 v11, 0x3f1, v19
	v_and_or_b32 v1, 0x1ff, v2, v1
	s_or_b32 s0, s1, s0
	v_lshrrev_b32_e32 v21, 8, v2
	s_wait_alu 0xfffe
	v_add_co_ci_u32_e64 v9, s0, 0, v9, s0
	v_or_b32_e32 v17, 0x1000, v5
	v_med3_i32 v11, v11, 0, 13
	v_cmp_ne_u32_e64 s0, 0, v1
	v_bfe_u32 v22, v2, 20, 11
	v_lshrrev_b32_e32 v6, 16, v6
	v_lshrrev_b32_e32 v2, 16, v2
	;; [unrolled: 1-line block ×3, first 2 shown]
	s_wait_alu 0xf1ff
	v_cndmask_b32_e64 v1, 0, 1, s0
	v_cmp_gt_i32_e64 s0, 31, v14
	global_store_b32 v[3:4], v16, off
	v_lshlrev_b32_e32 v11, v11, v18
	v_and_or_b32 v21, 0xffe, v21, v1
	s_wait_alu 0xf1ff
	v_cndmask_b32_e64 v23, 0x7c00, v9, s0
	v_cvt_f32_f16_e32 v9, v10
	v_cmp_ne_u32_e64 s0, 0, v20
	v_sub_nc_u32_e32 v1, 0x3f1, v22
	v_or_b32_e32 v20, 0x1000, v21
	v_add_nc_u32_e32 v22, 0xfffffc10, v22
	v_cvt_f64_f32_e32 v[9:10], v9
	s_wait_alu 0xf1ff
	v_cndmask_b32_e64 v12, 0, 1, s0
	v_cmp_ne_u32_e64 s0, v11, v17
	v_med3_i32 v26, v1, 0, 13
	v_mul_f64_e32 v[7:8], s[6:7], v[7:8]
	v_add_nc_u32_e32 v17, 0xfffffc10, v19
	v_lshl_or_b32 v27, v12, 9, 0x7c00
	s_wait_alu 0xf1ff
	v_cndmask_b32_e64 v11, 0, 1, s0
	v_cmp_eq_u32_e64 s0, 0x40f, v14
	v_add_nc_u32_e32 v1, 0x800, v55
	v_lshrrev_b32_e32 v19, v26, v20
	v_lshl_or_b32 v28, v17, 12, v5
	v_or_b32_e32 v18, v18, v11
	s_wait_alu 0xf1ff
	v_cndmask_b32_e64 v14, v23, v27, s0
	v_cmp_gt_i32_e64 s0, 1, v17
	ds_load_2addr_b32 v[11:12], v1 offset0:76 offset1:132
	v_lshlrev_b32_e32 v26, v26, v19
	v_cmp_gt_i32_e64 s2, 1, v22
	v_and_or_b32 v15, 0x8000, v15, v14
	s_wait_alu 0xf1ff
	v_cndmask_b32_e64 v18, v28, v18, s0
	v_lshl_or_b32 v14, v22, 12, v21
	v_cmp_ne_u32_e64 s0, v26, v20
	v_and_b32_e32 v26, 0xffff, v13
	s_delay_alu instid0(VALU_DEP_4) | instskip(SKIP_3) | instid1(VALU_DEP_3)
	v_and_b32_e32 v23, 7, v18
	v_lshrrev_b32_e32 v18, 2, v18
	s_wait_alu 0xf1ff
	v_cndmask_b32_e64 v20, 0, 1, s0
	v_cmp_lt_i32_e64 s0, 5, v23
	v_cmp_eq_u32_e64 s1, 3, v23
	s_delay_alu instid0(VALU_DEP_3) | instskip(NEXT) | instid1(VALU_DEP_2)
	v_or_b32_e32 v13, v19, v20
	s_or_b32 s0, s1, s0
	s_delay_alu instid0(VALU_DEP_1)
	v_cndmask_b32_e64 v13, v14, v13, s2
	s_wait_dscnt 0x0
	v_lshrrev_b32_e32 v19, 16, v11
	s_wait_alu 0xfffe
	v_add_co_ci_u32_e64 v14, s0, 0, v18, s0
	v_cmp_ne_u32_e64 s0, 0, v5
	v_and_b32_e32 v18, 7, v13
	v_mul_f16_e32 v20, v70, v19
	v_mul_f64_e32 v[9:10], s[6:7], v[9:10]
	v_and_or_b32 v7, 0x1ff, v8, v7
	s_wait_alu 0xf1ff
	v_cndmask_b32_e64 v5, 0, 1, s0
	v_cmp_gt_i32_e64 s0, 31, v17
	v_fmac_f16_e32 v20, v68, v11
	v_cmp_eq_u32_e64 s1, 3, v18
	v_cmp_ne_u32_e64 s2, 0, v7
	v_bfe_u32 v27, v8, 20, 11
	s_wait_alu 0xf1ff
	v_cndmask_b32_e64 v23, 0x7c00, v14, s0
	v_cmp_lt_i32_e64 s0, 5, v18
	v_lshrrev_b32_e32 v18, 2, v13
	v_cvt_f32_f16_e32 v13, v20
	v_cndmask_b32_e64 v7, 0, 1, s2
	v_lshrrev_b32_e32 v20, 8, v8
	s_or_b32 s0, s1, s0
	v_lshl_or_b32 v5, v5, 9, 0x7c00
	s_wait_alu 0xfffe
	v_add_co_ci_u32_e64 v18, s0, 0, v18, s0
	v_cmp_ne_u32_e64 s0, 0, v21
	v_cvt_f64_f32_e32 v[13:14], v13
	v_and_or_b32 v7, 0xffe, v20, v7
	v_sub_nc_u32_e32 v20, 0x3f1, v27
	s_wait_alu 0xf1ff
	v_cndmask_b32_e64 v21, 0, 1, s0
	v_cmp_gt_i32_e64 s0, 31, v22
	v_or_b32_e32 v28, 0x1000, v7
	v_med3_i32 v20, v20, 0, 13
	s_delay_alu instid0(VALU_DEP_4)
	v_lshl_or_b32 v21, v21, 9, 0x7c00
	s_wait_alu 0xf1ff
	v_cndmask_b32_e64 v18, 0x7c00, v18, s0
	v_cmp_eq_u32_e64 s0, 0x40f, v17
	v_lshrrev_b32_e32 v17, v20, v28
	s_wait_alu 0xf1ff
	s_delay_alu instid0(VALU_DEP_2) | instskip(SKIP_2) | instid1(VALU_DEP_3)
	v_cndmask_b32_e64 v5, v23, v5, s0
	v_cmp_eq_u32_e64 s0, 0x40f, v22
	v_add_nc_u32_e32 v22, 0x200, v55
	v_and_or_b32 v16, 0x8000, v6, v5
	s_wait_alu 0xf1ff
	s_delay_alu instid0(VALU_DEP_3)
	v_cndmask_b32_e64 v18, v18, v21, s0
	v_lshl_or_b32 v21, v15, 16, v26
	v_lshlrev_b32_e32 v15, v20, v17
	v_mul_f16_e32 v5, v70, v11
	v_lshrrev_b32_e32 v11, 8, v10
	v_and_or_b32 v18, 0x8000, v2, v18
	v_and_or_b32 v2, 0x1ff, v10, v9
	v_cmp_ne_u32_e64 s0, v15, v28
	v_fma_f16 v5, v68, v19, -v5
	v_bfe_u32 v19, v10, 20, 11
	v_add_nc_u32_e32 v9, 0xfffffc10, v27
	v_and_b32_e32 v27, 0xffff, v16
	s_wait_alu 0xf1ff
	v_cndmask_b32_e64 v6, 0, 1, s0
	v_cmp_ne_u32_e64 s0, 0, v2
	v_cvt_f32_f16_e32 v15, v5
	v_lshl_or_b32 v20, v9, 12, v7
	v_lshl_or_b32 v27, v18, 16, v27
	v_or_b32_e32 v17, v17, v6
	s_wait_alu 0xf1ff
	v_cndmask_b32_e64 v2, 0, 1, s0
	v_mul_f64_e32 v[5:6], s[6:7], v[13:14]
	v_cvt_f64_f32_e32 v[13:14], v15
	v_cmp_gt_i32_e64 s0, 1, v9
	ds_load_2addr_b32 v[15:16], v22 offset0:96 offset1:152
	v_and_or_b32 v11, 0xffe, v11, v2
	v_sub_nc_u32_e32 v2, 0x3f1, v19
	v_add_nc_u32_e32 v19, 0xfffffc10, v19
	s_wait_alu 0xf1ff
	v_cndmask_b32_e64 v20, v20, v17, s0
	v_or_b32_e32 v23, 0x1000, v11
	v_med3_i32 v26, v2, 0, 13
	v_add_co_u32 v2, s0, v3, s8
	s_wait_alu 0xf1ff
	v_add_co_ci_u32_e64 v3, s0, s9, v4, s0
	s_delay_alu instid0(VALU_DEP_3)
	v_lshrrev_b32_e32 v22, v26, v23
	v_and_b32_e32 v4, 7, v20
	v_add_co_u32 v17, s0, v2, s4
	s_wait_alu 0xf1ff
	v_add_co_ci_u32_e64 v18, s0, s5, v3, s0
	v_lshlrev_b32_e32 v26, v26, v22
	v_cmp_lt_i32_e64 s0, 5, v4
	v_cmp_eq_u32_e64 s1, 3, v4
	v_lshrrev_b32_e32 v4, 2, v20
	global_store_b32 v[2:3], v21, off
	global_store_b32 v[17:18], v27, off
	v_cmp_ne_u32_e64 s2, v26, v23
	s_wait_dscnt 0x0
	v_lshrrev_b32_e32 v23, 16, v15
	s_or_b32 s0, s1, s0
	s_wait_alu 0xfffe
	v_add_co_ci_u32_e64 v26, s0, 0, v4, s0
	v_cndmask_b32_e64 v20, 0, 1, s2
	v_cmp_ne_u32_e64 s0, 0, v7
	s_delay_alu instid0(VALU_DEP_2)
	v_or_b32_e32 v4, v22, v20
	v_mul_f16_e32 v22, v67, v23
	v_lshl_or_b32 v20, v19, 12, v11
	s_wait_alu 0xf1ff
	v_cndmask_b32_e64 v7, 0, 1, s0
	v_cmp_gt_i32_e64 s0, 1, v19
	v_and_or_b32 v28, 0x1ff, v6, v5
	v_fmac_f16_e32 v22, v66, v15
	v_bfe_u32 v30, v6, 20, 11
	v_lshl_or_b32 v7, v7, 9, 0x7c00
	s_wait_alu 0xf1ff
	v_cndmask_b32_e64 v20, v20, v4, s0
	v_cmp_gt_i32_e64 s0, 31, v9
	v_mul_f64_e32 v[4:5], s[6:7], v[13:14]
	v_cvt_f32_f16_e32 v13, v22
	v_lshrrev_b32_e32 v29, 8, v6
	v_and_b32_e32 v22, 7, v20
	s_wait_alu 0xf1ff
	v_cndmask_b32_e64 v26, 0x7c00, v26, s0
	v_cmp_ne_u32_e64 s0, 0, v28
	v_cvt_f64_f32_e32 v[13:14], v13
	v_cmp_eq_u32_e64 s1, 3, v22
	s_wait_alu 0xf1ff
	s_delay_alu instid0(VALU_DEP_3) | instskip(SKIP_1) | instid1(VALU_DEP_2)
	v_cndmask_b32_e64 v28, 0, 1, s0
	v_cmp_eq_u32_e64 s0, 0x40f, v9
	v_and_or_b32 v28, 0xffe, v29, v28
	s_wait_alu 0xf1ff
	s_delay_alu instid0(VALU_DEP_2)
	v_cndmask_b32_e64 v9, v26, v7, s0
	v_cmp_lt_i32_e64 s0, 5, v22
	v_lshrrev_b32_e32 v26, 16, v8
	v_sub_nc_u32_e32 v7, 0x3f1, v30
	v_mul_f16_e32 v8, v67, v15
	v_lshrrev_b32_e32 v15, 2, v20
	s_or_b32 s0, s1, s0
	v_or_b32_e32 v20, 0x1000, v28
	v_med3_i32 v22, v7, 0, 13
	v_fma_f16 v7, v66, v23, -v8
	s_wait_alu 0xfffe
	v_add_co_ci_u32_e64 v8, s0, 0, v15, s0
	v_cmp_ne_u32_e64 s0, 0, v11
	v_lshrrev_b32_e32 v15, v22, v20
	v_cvt_f32_f16_e32 v7, v7
	v_and_or_b32 v26, 0x8000, v26, v9
	s_wait_alu 0xf1ff
	v_cndmask_b32_e64 v11, 0, 1, s0
	v_cmp_gt_i32_e64 s0, 31, v19
	v_lshlrev_b32_e32 v9, v22, v15
	v_add_nc_u32_e32 v22, 0xfffffc10, v30
	s_delay_alu instid0(VALU_DEP_4)
	v_lshl_or_b32 v11, v11, 9, 0x7c00
	s_wait_alu 0xf1ff
	v_cndmask_b32_e64 v23, 0x7c00, v8, s0
	v_cvt_f64_f32_e32 v[7:8], v7
	v_cmp_eq_u32_e64 s0, 0x40f, v19
	v_and_or_b32 v4, 0x1ff, v5, v4
	v_lshrrev_b32_e32 v19, 16, v10
	s_wait_alu 0xf1ff
	s_delay_alu instid0(VALU_DEP_3)
	v_cndmask_b32_e64 v11, v23, v11, s0
	v_cmp_ne_u32_e64 s0, v9, v20
	v_mul_f64_e32 v[9:10], s[6:7], v[13:14]
	v_lshrrev_b32_e32 v23, 8, v5
	v_bfe_u32 v13, v5, 20, 11
	v_and_or_b32 v11, 0x8000, v19, v11
	s_wait_alu 0xf1ff
	v_cndmask_b32_e64 v20, 0, 1, s0
	v_cmp_ne_u32_e64 s0, 0, v4
	v_lshrrev_b32_e32 v5, 16, v5
	v_sub_nc_u32_e32 v19, 0x3f1, v13
	s_delay_alu instid0(VALU_DEP_4)
	v_or_b32_e32 v14, v15, v20
	s_wait_alu 0xf1ff
	v_cndmask_b32_e64 v4, 0, 1, s0
	v_lshl_or_b32 v15, v22, 12, v28
	v_cmp_gt_i32_e64 s0, 1, v22
	v_med3_i32 v19, v19, 0, 13
	v_and_b32_e32 v20, 0xffff, v26
	v_and_or_b32 v4, 0xffe, v23, v4
	s_wait_alu 0xf1ff
	v_cndmask_b32_e64 v14, v15, v14, s0
	v_add_co_u32 v2, s0, v17, s8
	s_delay_alu instid0(VALU_DEP_3) | instskip(SKIP_1) | instid1(VALU_DEP_4)
	v_or_b32_e32 v15, 0x1000, v4
	v_lshl_or_b32 v20, v11, 16, v20
	v_and_b32_e32 v11, 7, v14
	s_wait_alu 0xf1ff
	v_add_co_ci_u32_e64 v3, s0, s9, v18, s0
	v_lshrrev_b32_e32 v21, v19, v15
	v_lshrrev_b32_e32 v17, 16, v12
	v_cmp_lt_i32_e64 s0, 5, v11
	v_cmp_eq_u32_e64 s1, 3, v11
	v_lshrrev_b32_e32 v14, 2, v14
	v_lshlrev_b32_e32 v18, v19, v21
	v_mul_f64_e32 v[7:8], s[6:7], v[7:8]
	v_mul_f16_e32 v11, v65, v17
	s_or_b32 s0, s1, s0
	global_store_b32 v[2:3], v20, off
	v_cmp_ne_u32_e64 s2, v18, v15
	s_wait_alu 0xfffe
	v_add_co_ci_u32_e64 v19, s0, 0, v14, s0
	v_add_nc_u32_e32 v18, 0xfffffc10, v13
	v_fmac_f16_e32 v11, v64, v12
	s_wait_alu 0xf1ff
	v_cndmask_b32_e64 v15, 0, 1, s2
	v_cmp_ne_u32_e64 s0, 0, v28
	v_and_or_b32 v9, 0x1ff, v10, v9
	v_cvt_f32_f16_e32 v11, v11
	s_delay_alu instid0(VALU_DEP_4)
	v_or_b32_e32 v15, v21, v15
	v_lshl_or_b32 v21, v18, 12, v4
	s_wait_alu 0xf1ff
	v_cndmask_b32_e64 v23, 0, 1, s0
	v_cmp_gt_i32_e64 s0, 1, v18
	v_cvt_f64_f32_e32 v[13:14], v11
	s_delay_alu instid0(VALU_DEP_3) | instskip(SKIP_1) | instid1(VALU_DEP_3)
	v_lshl_or_b32 v23, v23, 9, 0x7c00
	s_wait_alu 0xf1ff
	v_cndmask_b32_e64 v11, v21, v15, s0
	v_cmp_ne_u32_e64 s0, 0, v9
	v_lshrrev_b32_e32 v15, 8, v10
	v_bfe_u32 v21, v10, 20, 11
	v_lshrrev_b32_e32 v10, 16, v10
	v_and_b32_e32 v26, 7, v11
	s_wait_alu 0xf1ff
	v_cndmask_b32_e64 v9, 0, 1, s0
	v_cmp_gt_i32_e64 s0, 31, v22
	s_delay_alu instid0(VALU_DEP_3) | instskip(NEXT) | instid1(VALU_DEP_3)
	v_cmp_eq_u32_e64 s1, 3, v26
	v_and_or_b32 v9, 0xffe, v15, v9
	v_sub_nc_u32_e32 v15, 0x3f1, v21
	s_wait_alu 0xf1ff
	v_cndmask_b32_e64 v19, 0x7c00, v19, s0
	v_cmp_eq_u32_e64 s0, 0x40f, v22
	v_add_nc_u32_e32 v21, 0xfffffc10, v21
	v_or_b32_e32 v22, 0x1000, v9
	v_med3_i32 v15, v15, 0, 13
	v_and_or_b32 v7, 0x1ff, v8, v7
	s_wait_alu 0xf1ff
	v_cndmask_b32_e64 v19, v19, v23, s0
	v_cmp_lt_i32_e64 s0, 5, v26
	v_lshrrev_b32_e32 v23, 16, v6
	v_lshrrev_b32_e32 v6, 2, v11
	;; [unrolled: 1-line block ×3, first 2 shown]
	v_mul_f16_e32 v11, v65, v12
	s_or_b32 s0, s1, s0
	v_lshrrev_b32_e32 v12, 8, v8
	s_wait_alu 0xfffe
	v_add_co_ci_u32_e64 v27, s0, 0, v6, s0
	v_lshlrev_b32_e32 v6, v15, v26
	v_cmp_ne_u32_e64 s0, 0, v7
	v_fma_f16 v11, v64, v17, -v11
	v_bfe_u32 v15, v8, 20, 11
	v_and_or_b32 v19, 0x8000, v23, v19
	s_wait_alu 0xf1ff
	v_cndmask_b32_e64 v7, 0, 1, s0
	v_cmp_ne_u32_e64 s0, v6, v22
	v_sub_nc_u32_e32 v28, 0x3f1, v15
	v_cvt_f32_f16_e32 v11, v11
	v_add_nc_u32_e32 v15, 0xfffffc10, v15
	v_and_or_b32 v22, 0xffe, v12, v7
	s_wait_alu 0xf1ff
	v_cndmask_b32_e64 v17, 0, 1, s0
	v_cmp_ne_u32_e64 s0, 0, v4
	v_mul_f64_e32 v[6:7], s[6:7], v[13:14]
	v_lshl_or_b32 v14, v21, 12, v9
	v_cvt_f64_f32_e32 v[11:12], v11
	v_or_b32_e32 v13, v26, v17
	s_wait_alu 0xf1ff
	v_cndmask_b32_e64 v4, 0, 1, s0
	v_cmp_gt_i32_e64 s0, 31, v18
	v_or_b32_e32 v17, 0x1000, v22
	v_med3_i32 v26, v28, 0, 13
	s_delay_alu instid0(VALU_DEP_4) | instskip(SKIP_4) | instid1(VALU_DEP_1)
	v_lshl_or_b32 v4, v4, 9, 0x7c00
	s_wait_alu 0xf1ff
	v_cndmask_b32_e64 v27, 0x7c00, v27, s0
	v_cmp_gt_i32_e64 s0, 1, v21
	s_wait_alu 0xf1ff
	v_cndmask_b32_e64 v13, v14, v13, s0
	v_lshrrev_b32_e32 v14, v26, v17
	v_cmp_eq_u32_e64 s0, 0x40f, v18
	s_delay_alu instid0(VALU_DEP_3) | instskip(NEXT) | instid1(VALU_DEP_3)
	v_and_b32_e32 v18, 7, v13
	v_lshlrev_b32_e32 v26, v26, v14
	s_wait_alu 0xf1ff
	s_delay_alu instid0(VALU_DEP_3) | instskip(NEXT) | instid1(VALU_DEP_3)
	v_cndmask_b32_e64 v4, v27, v4, s0
	v_cmp_lt_i32_e64 s0, 5, v18
	s_delay_alu instid0(VALU_DEP_3) | instskip(NEXT) | instid1(VALU_DEP_3)
	v_cmp_ne_u32_e64 s1, v26, v17
	v_and_or_b32 v20, 0x8000, v5, v4
	v_lshrrev_b32_e32 v5, 2, v13
	v_lshl_or_b32 v13, v15, 12, v22
	v_and_b32_e32 v17, 0xffff, v19
	s_wait_alu 0xf1ff
	v_cndmask_b32_e64 v4, 0, 1, s1
	v_cmp_eq_u32_e64 s1, 3, v18
	v_lshrrev_b32_e32 v18, 16, v16
	v_lshl_or_b32 v17, v20, 16, v17
	s_delay_alu instid0(VALU_DEP_4) | instskip(NEXT) | instid1(VALU_DEP_4)
	v_or_b32_e32 v4, v14, v4
	s_or_b32 s0, s1, s0
	v_and_or_b32 v6, 0x1ff, v7, v6
	s_wait_alu 0xfffe
	v_add_co_ci_u32_e64 v14, s0, 0, v5, s0
	v_cmp_ne_u32_e64 s0, 0, v9
	v_lshrrev_b32_e32 v19, 8, v7
	v_bfe_u32 v23, v7, 20, 11
	v_lshrrev_b32_e32 v7, 16, v7
	s_wait_alu 0xf1ff
	v_cndmask_b32_e64 v9, 0, 1, s0
	v_cmp_gt_i32_e64 s0, 1, v15
	s_delay_alu instid0(VALU_DEP_2) | instskip(SKIP_1) | instid1(VALU_DEP_2)
	v_lshl_or_b32 v9, v9, 9, 0x7c00
	s_wait_alu 0xf1ff
	v_cndmask_b32_e64 v13, v13, v4, s0
	v_cmp_gt_i32_e64 s0, 31, v21
	v_mul_f64_e32 v[4:5], s[6:7], v[11:12]
	v_mul_f16_e32 v12, v63, v18
	s_wait_alu 0xf1ff
	s_delay_alu instid0(VALU_DEP_3) | instskip(SKIP_1) | instid1(VALU_DEP_3)
	v_cndmask_b32_e64 v11, 0x7c00, v14, s0
	v_cmp_ne_u32_e64 s0, 0, v6
	v_fmac_f16_e32 v12, v62, v16
	v_and_b32_e32 v14, 7, v13
	v_lshrrev_b32_e32 v13, 2, v13
	s_wait_alu 0xf1ff
	v_cndmask_b32_e64 v6, 0, 1, s0
	v_cmp_eq_u32_e64 s0, 0x40f, v21
	v_cmp_eq_u32_e64 s1, 3, v14
	s_delay_alu instid0(VALU_DEP_3) | instskip(SKIP_1) | instid1(VALU_DEP_3)
	v_and_or_b32 v6, 0xffe, v19, v6
	s_wait_alu 0xf1ff
	v_cndmask_b32_e64 v9, v11, v9, s0
	v_cvt_f32_f16_e32 v11, v12
	v_cmp_lt_i32_e64 s0, 5, v14
	v_sub_nc_u32_e32 v19, 0x3f1, v23
	v_or_b32_e32 v14, 0x1000, v6
	v_and_or_b32 v26, 0x8000, v10, v9
	v_cvt_f64_f32_e32 v[11:12], v11
	s_or_b32 s0, s1, s0
	v_med3_i32 v19, v19, 0, 13
	s_wait_alu 0xfffe
	v_add_co_ci_u32_e64 v13, s0, 0, v13, s0
	v_cmp_ne_u32_e64 s0, 0, v22
	v_mul_f16_e32 v9, v63, v16
	v_lshrrev_b32_e32 v22, v19, v14
	v_lshrrev_b32_e32 v16, 16, v8
	s_wait_alu 0xf1ff
	v_cndmask_b32_e64 v21, 0, 1, s0
	v_cmp_gt_i32_e64 s0, 31, v15
	v_lshlrev_b32_e32 v10, v19, v22
	v_fma_f16 v8, v62, v18, -v9
	v_add_nc_u32_e32 v18, 0xfffffc10, v23
	v_lshl_or_b32 v21, v21, 9, 0x7c00
	s_wait_alu 0xf1ff
	v_cndmask_b32_e64 v13, 0x7c00, v13, s0
	v_cmp_eq_u32_e64 s0, 0x40f, v15
	v_and_or_b32 v4, 0x1ff, v5, v4
	v_cvt_f32_f16_e32 v8, v8
	v_bfe_u32 v19, v5, 20, 11
	s_wait_alu 0xf1ff
	v_cndmask_b32_e64 v15, v13, v21, s0
	v_cmp_ne_u32_e64 s0, v10, v14
	v_cvt_f64_f32_e32 v[8:9], v8
	v_lshrrev_b32_e32 v13, 8, v5
	v_lshl_or_b32 v21, v18, 12, v6
	v_and_or_b32 v15, 0x8000, v16, v15
	s_wait_alu 0xf1ff
	v_cndmask_b32_e64 v10, 0, 1, s0
	v_cmp_ne_u32_e64 s0, 0, v4
	v_and_b32_e32 v16, 0xffff, v26
	s_delay_alu instid0(VALU_DEP_3) | instskip(SKIP_1) | instid1(VALU_DEP_3)
	v_or_b32_e32 v10, v22, v10
	s_wait_alu 0xf1ff
	v_cndmask_b32_e64 v4, 0, 1, s0
	v_cmp_gt_i32_e64 s0, 1, v18
	v_lshl_or_b32 v26, v15, 16, v16
	s_delay_alu instid0(VALU_DEP_3)
	v_and_or_b32 v22, 0xffe, v13, v4
	ds_load_2addr_b32 v[13:14], v1 offset0:188 offset1:244
	v_sub_nc_u32_e32 v1, 0x3f1, v19
	s_wait_alu 0xf1ff
	v_cndmask_b32_e64 v4, v21, v10, s0
	v_mul_f64_e32 v[10:11], s[6:7], v[11:12]
	v_or_b32_e32 v12, 0x1000, v22
	v_med3_i32 v21, v1, 0, 13
	v_add_co_u32 v1, s0, v2, s4
	v_and_b32_e32 v20, 7, v4
	s_wait_alu 0xf1ff
	v_add_co_ci_u32_e64 v2, s0, s5, v3, s0
	v_lshrrev_b32_e32 v23, v21, v12
	v_lshrrev_b32_e32 v4, 2, v4
	v_cmp_lt_i32_e64 s0, 5, v20
	v_cmp_eq_u32_e64 s1, 3, v20
	s_delay_alu instid0(VALU_DEP_4) | instskip(SKIP_2) | instid1(VALU_DEP_3)
	v_lshlrev_b32_e32 v3, v21, v23
	s_wait_dscnt 0x0
	v_lshrrev_b32_e32 v20, 16, v13
	s_or_b32 s0, s1, s0
	s_delay_alu instid0(VALU_DEP_2)
	v_cmp_ne_u32_e64 s2, v3, v12
	s_wait_alu 0xfffe
	v_add_co_ci_u32_e64 v16, s0, 0, v4, s0
	v_mul_f16_e32 v15, v61, v20
	v_add_nc_u32_e32 v12, 0xfffffc10, v19
	s_wait_alu 0xf1ff
	v_cndmask_b32_e64 v3, 0, 1, s2
	v_cmp_ne_u32_e64 s0, 0, v6
	v_fmac_f16_e32 v15, v60, v13
	v_lshl_or_b32 v21, v12, 12, v22
	s_delay_alu instid0(VALU_DEP_4)
	v_or_b32_e32 v19, v23, v3
	v_mul_f64_e32 v[3:4], s[6:7], v[8:9]
	s_wait_alu 0xf1ff
	v_cndmask_b32_e64 v6, 0, 1, s0
	v_cmp_gt_i32_e64 s0, 1, v12
	v_cvt_f32_f16_e32 v8, v15
	v_mul_f16_e32 v13, v61, v13
	s_delay_alu instid0(VALU_DEP_4)
	v_lshl_or_b32 v6, v6, 9, 0x7c00
	s_wait_alu 0xf1ff
	v_cndmask_b32_e64 v19, v21, v19, s0
	v_cmp_gt_i32_e64 s0, 31, v18
	v_and_or_b32 v10, 0x1ff, v11, v10
	v_cvt_f64_f32_e32 v[8:9], v8
	s_delay_alu instid0(VALU_DEP_4)
	v_and_b32_e32 v23, 7, v19
	s_wait_alu 0xf1ff
	v_cndmask_b32_e64 v21, 0x7c00, v16, s0
	v_add_co_u32 v15, s0, v1, s8
	s_wait_alu 0xf1ff
	v_add_co_ci_u32_e64 v16, s0, s9, v2, s0
	v_cmp_eq_u32_e64 s0, 0x40f, v18
	v_cmp_ne_u32_e64 s1, 0, v10
	v_lshrrev_b32_e32 v19, 2, v19
	v_lshrrev_b32_e32 v18, 8, v11
	global_store_b32 v[1:2], v17, off
	global_store_b32 v[15:16], v26, off
	s_wait_alu 0xf1ff
	v_cndmask_b32_e64 v6, v21, v6, s0
	v_cmp_lt_i32_e64 s0, 5, v23
	v_cndmask_b32_e64 v10, 0, 1, s1
	v_cmp_eq_u32_e64 s1, 3, v23
	v_bfe_u32 v21, v11, 20, 11
	v_and_or_b32 v27, 0x8000, v7, v6
	v_lshrrev_b32_e32 v11, 16, v11
	v_and_or_b32 v18, 0xffe, v18, v10
	s_or_b32 s0, s1, s0
	v_sub_nc_u32_e32 v10, 0x3f1, v21
	s_wait_alu 0xfffe
	v_add_co_ci_u32_e64 v19, s0, 0, v19, s0
	v_cmp_ne_u32_e64 s0, 0, v22
	v_or_b32_e32 v23, 0x1000, v18
	v_med3_i32 v10, v10, 0, 13
	v_and_or_b32 v3, 0x1ff, v4, v3
	v_bfe_u32 v28, v4, 20, 11
	s_wait_alu 0xf1ff
	v_cndmask_b32_e64 v22, 0, 1, s0
	v_cmp_gt_i32_e64 s0, 31, v12
	v_lshrrev_b32_e32 v7, v10, v23
	s_delay_alu instid0(VALU_DEP_3) | instskip(SKIP_1) | instid1(VALU_DEP_3)
	v_lshl_or_b32 v22, v22, 9, 0x7c00
	s_wait_alu 0xf1ff
	v_cndmask_b32_e64 v19, 0x7c00, v19, s0
	v_cmp_eq_u32_e64 s0, 0x40f, v12
	v_lshlrev_b32_e32 v10, v10, v7
	s_wait_alu 0xf1ff
	s_delay_alu instid0(VALU_DEP_2)
	v_cndmask_b32_e64 v12, v19, v22, s0
	v_cmp_ne_u32_e64 s0, 0, v3
	v_lshrrev_b32_e32 v19, 16, v5
	v_lshrrev_b32_e32 v22, 8, v4
	v_mul_f64_e32 v[5:6], s[6:7], v[8:9]
	v_fma_f16 v8, v60, v20, -v13
	s_wait_alu 0xf1ff
	v_cndmask_b32_e64 v3, 0, 1, s0
	v_cmp_ne_u32_e64 s0, v10, v23
	v_sub_nc_u32_e32 v10, 0x3f1, v28
	v_add_nc_u32_e32 v13, 0xfffffc10, v21
	v_lshrrev_b32_e32 v4, 16, v4
	v_and_or_b32 v20, 0xffe, v22, v3
	s_wait_alu 0xf1ff
	v_cndmask_b32_e64 v9, 0, 1, s0
	v_cvt_f32_f16_e32 v3, v8
	v_lshl_or_b32 v21, v13, 12, v18
	v_cmp_gt_i32_e64 s0, 1, v13
	v_or_b32_e32 v22, 0x1000, v20
	v_or_b32_e32 v9, v7, v9
	v_cvt_f64_f32_e32 v[7:8], v3
	v_med3_i32 v3, v10, 0, 13
	v_and_or_b32 v10, 0x8000, v19, v12
	v_and_b32_e32 v12, 0xffff, v27
	s_wait_alu 0xf1ff
	v_cndmask_b32_e64 v9, v21, v9, s0
	v_add_co_u32 v2, s0, v15, s4
	v_lshrrev_b32_e32 v19, v3, v22
	v_lshl_or_b32 v17, v10, 16, v12
	s_delay_alu instid0(VALU_DEP_4)
	v_and_b32_e32 v1, 7, v9
	v_lshrrev_b32_e32 v12, 16, v0
	v_add_nc_u32_e32 v15, 0xfffffc10, v28
	v_lshlrev_b32_e32 v10, v3, v19
	s_wait_alu 0xf1ff
	v_add_co_ci_u32_e64 v3, s0, s5, v16, s0
	v_cmp_lt_i32_e64 s0, 5, v1
	v_mul_f16_e32 v16, v59, v12
	v_cmp_ne_u32_e64 s1, v10, v22
	v_cmp_eq_u32_e64 s2, 0x40f, v13
	s_delay_alu instid0(VALU_DEP_3) | instskip(SKIP_1) | instid1(VALU_DEP_3)
	v_fmac_f16_e32 v16, v58, v0
	s_wait_alu 0xf1ff
	v_cndmask_b32_e64 v10, 0, 1, s1
	v_cmp_eq_u32_e64 s1, 3, v1
	v_lshrrev_b32_e32 v1, 2, v9
	v_and_or_b32 v5, 0x1ff, v6, v5
	v_cvt_f32_f16_e32 v16, v16
	v_or_b32_e32 v9, v19, v10
	s_or_b32 s0, s1, s0
	v_lshl_or_b32 v10, v15, 12, v20
	s_wait_alu 0xfffe
	v_add_co_ci_u32_e64 v1, s0, 0, v1, s0
	v_cmp_gt_i32_e64 s0, 1, v15
	v_bfe_u32 v21, v6, 20, 11
	s_wait_alu 0xf1ff
	s_delay_alu instid0(VALU_DEP_2)
	v_cndmask_b32_e64 v19, v10, v9, s0
	v_cmp_ne_u32_e64 s0, 0, v5
	v_cvt_f64_f32_e32 v[9:10], v16
	v_lshrrev_b32_e32 v16, 8, v6
	v_mul_f64_e32 v[7:8], s[6:7], v[7:8]
	v_and_b32_e32 v22, 7, v19
	s_wait_alu 0xf1ff
	v_cndmask_b32_e64 v5, 0, 1, s0
	v_cmp_ne_u32_e64 s0, 0, v18
	v_lshrrev_b32_e32 v19, 2, v19
	v_cmp_eq_u32_e64 s1, 3, v22
	s_delay_alu instid0(VALU_DEP_4)
	v_and_or_b32 v16, 0xffe, v16, v5
	s_wait_alu 0xf1ff
	v_cndmask_b32_e64 v18, 0, 1, s0
	v_cmp_gt_i32_e64 s0, 31, v13
	v_sub_nc_u32_e32 v5, 0x3f1, v21
	v_or_b32_e32 v23, 0x1000, v16
	s_delay_alu instid0(VALU_DEP_4) | instskip(SKIP_4) | instid1(VALU_DEP_3)
	v_lshl_or_b32 v18, v18, 9, 0x7c00
	s_wait_alu 0xf1ff
	v_cndmask_b32_e64 v1, 0x7c00, v1, s0
	v_cmp_lt_i32_e64 s0, 5, v22
	v_med3_i32 v5, v5, 0, 13
	v_cndmask_b32_e64 v1, v1, v18, s2
	s_delay_alu instid0(VALU_DEP_3) | instskip(NEXT) | instid1(VALU_DEP_2)
	s_or_b32 s0, s1, s0
	v_lshrrev_b32_e32 v13, v5, v23
	s_wait_alu 0xfffe
	v_add_co_ci_u32_e64 v18, s0, 0, v19, s0
	v_cmp_ne_u32_e64 s0, 0, v20
	v_add_nc_u32_e32 v20, 0xfffffc10, v21
	v_lshlrev_b32_e32 v5, v5, v13
	v_and_or_b32 v11, 0x8000, v11, v1
	s_wait_alu 0xf1ff
	v_cndmask_b32_e64 v19, 0, 1, s0
	v_cmp_gt_i32_e64 s0, 31, v15
	s_delay_alu instid0(VALU_DEP_2) | instskip(SKIP_1) | instid1(VALU_DEP_2)
	v_lshl_or_b32 v19, v19, 9, 0x7c00
	s_wait_alu 0xf1ff
	v_cndmask_b32_e64 v18, 0x7c00, v18, s0
	v_cmp_ne_u32_e64 s0, v5, v23
	v_and_or_b32 v7, 0x1ff, v8, v7
	s_wait_alu 0xf1ff
	s_delay_alu instid0(VALU_DEP_2) | instskip(SKIP_1) | instid1(VALU_DEP_2)
	v_cndmask_b32_e64 v5, 0, 1, s0
	v_cmp_eq_u32_e64 s0, 0x40f, v15
	v_or_b32_e32 v5, v13, v5
	v_mul_f16_e32 v13, v59, v0
	v_mul_f64_e32 v[0:1], s[6:7], v[9:10]
	s_wait_alu 0xf1ff
	v_cndmask_b32_e64 v15, v18, v19, s0
	v_lshl_or_b32 v9, v20, 12, v16
	v_cmp_gt_i32_e64 s0, 1, v20
	v_fma_f16 v10, v58, v12, -v13
	v_bfe_u32 v12, v8, 20, 11
	v_and_or_b32 v13, 0x8000, v4, v15
	v_lshrrev_b32_e32 v19, 16, v14
	s_wait_alu 0xf1ff
	v_cndmask_b32_e64 v9, v9, v5, s0
	v_cmp_ne_u32_e64 s0, 0, v7
	v_cvt_f32_f16_e32 v5, v10
	v_lshrrev_b32_e32 v10, 8, v8
	v_mul_f16_e32 v21, v57, v19
	v_and_b32_e32 v15, 7, v9
	s_wait_alu 0xf1ff
	v_cndmask_b32_e64 v7, 0, 1, s0
	v_cvt_f64_f32_e32 v[4:5], v5
	v_lshrrev_b32_e32 v9, 2, v9
	v_fmac_f16_e32 v21, v56, v14
	v_cmp_lt_i32_e64 s0, 5, v15
	v_and_or_b32 v18, 0xffe, v10, v7
	v_sub_nc_u32_e32 v7, 0x3f1, v12
	v_cmp_eq_u32_e64 s1, 3, v15
	v_and_b32_e32 v10, 0xffff, v11
	v_lshrrev_b32_e32 v8, 16, v8
	v_or_b32_e32 v11, 0x1000, v18
	v_med3_i32 v7, v7, 0, 13
	s_or_b32 s0, s1, s0
	v_lshl_or_b32 v13, v13, 16, v10
	s_wait_alu 0xfffe
	v_add_co_ci_u32_e64 v9, s0, 0, v9, s0
	v_lshrrev_b32_e32 v15, v7, v11
	v_cmp_ne_u32_e64 s0, 0, v16
	v_cvt_f32_f16_e32 v16, v21
	s_delay_alu instid0(VALU_DEP_3) | instskip(SKIP_1) | instid1(VALU_DEP_3)
	v_lshlrev_b32_e32 v7, v7, v15
	s_wait_alu 0xf1ff
	v_cndmask_b32_e64 v10, 0, 1, s0
	v_cmp_gt_i32_e64 s0, 31, v20
	v_and_or_b32 v0, 0x1ff, v1, v0
	s_delay_alu instid0(VALU_DEP_3) | instskip(SKIP_1) | instid1(VALU_DEP_3)
	v_lshl_or_b32 v22, v10, 9, 0x7c00
	s_wait_alu 0xf1ff
	v_cndmask_b32_e64 v21, 0x7c00, v9, s0
	v_cvt_f64_f32_e32 v[9:10], v16
	v_cmp_ne_u32_e64 s0, v7, v11
	v_add_nc_u32_e32 v16, 0xfffffc10, v12
	v_mul_f16_e32 v11, v57, v14
	v_lshrrev_b32_e32 v12, 8, v1
	v_bfe_u32 v14, v1, 20, 11
	s_wait_alu 0xf1ff
	v_cndmask_b32_e64 v7, 0, 1, s0
	v_cmp_ne_u32_e64 s0, 0, v0
	v_fma_f16 v11, v56, v19, -v11
	v_lshrrev_b32_e32 v1, 16, v1
	v_mul_f64_e32 v[4:5], s[6:7], v[4:5]
	v_or_b32_e32 v7, v15, v7
	s_wait_alu 0xf1ff
	v_cndmask_b32_e64 v0, 0, 1, s0
	v_lshl_or_b32 v15, v16, 12, v18
	v_cmp_gt_i32_e64 s0, 1, v16
	v_cvt_f32_f16_e32 v11, v11
	s_delay_alu instid0(VALU_DEP_4)
	v_and_or_b32 v0, 0xffe, v12, v0
	v_sub_nc_u32_e32 v12, 0x3f1, v14
	s_wait_alu 0xf1ff
	v_cndmask_b32_e64 v15, v15, v7, s0
	v_cmp_eq_u32_e64 s0, 0x40f, v20
	v_add_nc_u32_e32 v14, 0xfffffc10, v14
	v_or_b32_e32 v19, 0x1000, v0
	v_med3_i32 v23, v12, 0, 13
	v_cvt_f64_f32_e32 v[11:12], v11
	s_wait_alu 0xf1ff
	v_cndmask_b32_e64 v20, v21, v22, s0
	v_and_b32_e32 v22, 7, v15
	v_lshrrev_b32_e32 v21, 16, v6
	v_add_co_u32 v6, s0, v2, s8
	v_lshrrev_b32_e32 v26, v23, v19
	s_wait_alu 0xf1ff
	v_add_co_ci_u32_e64 v7, s0, s9, v3, s0
	v_cmp_lt_i32_e64 s0, 5, v22
	v_cmp_eq_u32_e64 s1, 3, v22
	v_lshrrev_b32_e32 v15, 2, v15
	v_lshlrev_b32_e32 v23, v23, v26
	v_and_or_b32 v20, 0x8000, v21, v20
	v_mul_f64_e32 v[9:10], s[6:7], v[9:10]
	s_or_b32 s0, s1, s0
	v_lshl_or_b32 v21, v14, 12, v0
	s_wait_alu 0xfffe
	v_add_co_ci_u32_e64 v15, s0, 0, v15, s0
	v_cmp_ne_u32_e64 s2, v23, v19
	v_cmp_ne_u32_e64 s0, 0, v18
	s_wait_alu 0xf1ff
	s_delay_alu instid0(VALU_DEP_2) | instskip(NEXT) | instid1(VALU_DEP_2)
	v_cndmask_b32_e64 v19, 0, 1, s2
	v_cndmask_b32_e64 v18, 0, 1, s0
	v_cmp_gt_i32_e64 s0, 31, v16
	v_and_or_b32 v4, 0x1ff, v5, v4
	s_delay_alu instid0(VALU_DEP_4) | instskip(NEXT) | instid1(VALU_DEP_4)
	v_or_b32_e32 v19, v26, v19
	v_lshl_or_b32 v18, v18, 9, 0x7c00
	s_wait_alu 0xf1ff
	v_cndmask_b32_e64 v15, 0x7c00, v15, s0
	v_cmp_gt_i32_e64 s0, 1, v14
	s_wait_alu 0xf1ff
	s_delay_alu instid0(VALU_DEP_1) | instskip(SKIP_3) | instid1(VALU_DEP_4)
	v_cndmask_b32_e64 v19, v21, v19, s0
	v_cmp_eq_u32_e64 s0, 0x40f, v16
	v_mul_f64_e32 v[11:12], s[6:7], v[11:12]
	v_bfe_u32 v21, v5, 20, 11
	v_and_b32_e32 v16, 7, v19
	s_wait_alu 0xf1ff
	v_cndmask_b32_e64 v15, v15, v18, s0
	v_cmp_ne_u32_e64 s0, 0, v4
	v_lshrrev_b32_e32 v18, 8, v5
	v_lshrrev_b32_e32 v5, 16, v5
	v_cmp_eq_u32_e64 s1, 3, v16
	v_and_or_b32 v8, 0x8000, v8, v15
	v_and_b32_e32 v15, 0xffff, v20
	s_wait_alu 0xf1ff
	v_cndmask_b32_e64 v4, 0, 1, s0
	v_cmp_lt_i32_e64 s0, 5, v16
	v_and_or_b32 v9, 0x1ff, v10, v9
	v_lshrrev_b32_e32 v20, 8, v10
	v_lshl_or_b32 v15, v8, 16, v15
	v_lshrrev_b32_e32 v8, 2, v19
	v_and_or_b32 v4, 0xffe, v18, v4
	v_sub_nc_u32_e32 v18, 0x3f1, v21
	s_or_b32 s0, s1, s0
	v_bfe_u32 v22, v10, 20, 11
	s_wait_alu 0xfffe
	v_add_co_ci_u32_e64 v8, s0, 0, v8, s0
	v_or_b32_e32 v16, 0x1000, v4
	v_med3_i32 v18, v18, 0, 13
	v_cmp_ne_u32_e64 s0, 0, v0
	s_delay_alu instid0(VALU_DEP_2) | instskip(SKIP_1) | instid1(VALU_DEP_2)
	v_lshrrev_b32_e32 v19, v18, v16
	s_wait_alu 0xf1ff
	v_cndmask_b32_e64 v0, 0, 1, s0
	v_cmp_gt_i32_e64 s0, 31, v14
	s_delay_alu instid0(VALU_DEP_3) | instskip(NEXT) | instid1(VALU_DEP_3)
	v_lshlrev_b32_e32 v18, v18, v19
	v_lshl_or_b32 v0, v0, 9, 0x7c00
	s_wait_alu 0xf1ff
	s_delay_alu instid0(VALU_DEP_3) | instskip(SKIP_3) | instid1(VALU_DEP_2)
	v_cndmask_b32_e64 v8, 0x7c00, v8, s0
	v_cmp_ne_u32_e64 s0, 0, v9
	v_and_or_b32 v11, 0x1ff, v12, v11
	s_wait_alu 0xf1ff
	v_cndmask_b32_e64 v9, 0, 1, s0
	v_cmp_ne_u32_e64 s0, v18, v16
	v_add_nc_u32_e32 v18, 0xfffffc10, v21
	v_bfe_u32 v21, v12, 20, 11
	s_delay_alu instid0(VALU_DEP_4)
	v_and_or_b32 v9, 0xffe, v20, v9
	s_wait_alu 0xf1ff
	v_cndmask_b32_e64 v16, 0, 1, s0
	v_sub_nc_u32_e32 v20, 0x3f1, v22
	v_cmp_eq_u32_e64 s0, 0x40f, v14
	v_lshl_or_b32 v14, v18, 12, v4
	s_wait_alu 0xf1ff
	s_delay_alu instid0(VALU_DEP_2)
	v_cndmask_b32_e64 v0, v8, v0, s0
	v_or_b32_e32 v8, v19, v16
	v_or_b32_e32 v16, 0x1000, v9
	v_med3_i32 v19, v20, 0, 13
	v_cmp_gt_i32_e64 s0, 1, v18
	v_lshrrev_b32_e32 v20, 8, v12
	v_and_or_b32 v0, 0x8000, v1, v0
	s_wait_alu 0xf1ff
	s_delay_alu instid0(VALU_DEP_3) | instskip(SKIP_3) | instid1(VALU_DEP_4)
	v_cndmask_b32_e64 v8, v14, v8, s0
	v_lshrrev_b32_e32 v14, v19, v16
	v_cmp_ne_u32_e64 s0, 0, v11
	v_and_b32_e32 v0, 0xffff, v0
	v_and_b32_e32 v23, 7, v8
	s_delay_alu instid0(VALU_DEP_4)
	v_lshlrev_b32_e32 v19, v19, v14
	s_wait_alu 0xf1ff
	v_cndmask_b32_e64 v11, 0, 1, s0
	v_lshrrev_b32_e32 v8, 2, v8
	v_cmp_lt_i32_e64 s0, 5, v23
	v_cmp_ne_u32_e64 s1, v19, v16
	s_delay_alu instid0(VALU_DEP_4)
	v_and_or_b32 v1, 0xffe, v20, v11
	v_sub_nc_u32_e32 v11, 0x3f1, v21
	v_add_nc_u32_e32 v20, 0xfffffc10, v22
	s_wait_alu 0xf1ff
	v_cndmask_b32_e64 v16, 0, 1, s1
	v_cmp_eq_u32_e64 s1, 3, v23
	v_or_b32_e32 v19, 0x1000, v1
	v_med3_i32 v11, v11, 0, 13
	v_lshl_or_b32 v22, v20, 12, v9
	v_or_b32_e32 v14, v14, v16
	s_or_b32 s0, s1, s0
	s_wait_alu 0xfffe
	v_add_co_ci_u32_e64 v8, s0, 0, v8, s0
	v_lshrrev_b32_e32 v16, v11, v19
	v_cmp_gt_i32_e64 s0, 1, v20
	s_delay_alu instid0(VALU_DEP_2) | instskip(SKIP_1) | instid1(VALU_DEP_2)
	v_lshlrev_b32_e32 v11, v11, v16
	s_wait_alu 0xf1ff
	v_cndmask_b32_e64 v14, v22, v14, s0
	v_cmp_ne_u32_e64 s0, 0, v4
	s_wait_alu 0xf1ff
	s_delay_alu instid0(VALU_DEP_1) | instskip(SKIP_3) | instid1(VALU_DEP_4)
	v_cndmask_b32_e64 v4, 0, 1, s0
	v_cmp_ne_u32_e64 s0, v11, v19
	v_add_nc_u32_e32 v19, 0xfffffc10, v21
	v_and_b32_e32 v21, 7, v14
	v_lshl_or_b32 v4, v4, 9, 0x7c00
	s_wait_alu 0xf1ff
	v_cndmask_b32_e64 v11, 0, 1, s0
	v_cmp_gt_i32_e64 s0, 31, v18
	v_cmp_gt_i32_e64 s2, 1, v19
	v_cmp_eq_u32_e64 s1, 3, v21
	s_delay_alu instid0(VALU_DEP_4) | instskip(SKIP_4) | instid1(VALU_DEP_3)
	v_or_b32_e32 v11, v16, v11
	v_lshl_or_b32 v16, v19, 12, v1
	s_wait_alu 0xf1ff
	v_cndmask_b32_e64 v8, 0x7c00, v8, s0
	v_cmp_lt_i32_e64 s0, 5, v21
	v_cndmask_b32_e64 v11, v16, v11, s2
	v_cmp_eq_u32_e64 s2, 0x40f, v18
	s_delay_alu instid0(VALU_DEP_3) | instskip(NEXT) | instid1(VALU_DEP_1)
	s_or_b32 s0, s1, s0
	v_cndmask_b32_e64 v4, v8, v4, s2
	v_lshrrev_b32_e32 v8, 2, v14
	v_and_b32_e32 v14, 7, v11
	v_lshrrev_b32_e32 v11, 2, v11
	v_cmp_gt_i32_e64 s2, 31, v20
	s_wait_alu 0xfffe
	v_add_co_ci_u32_e64 v8, s0, 0, v8, s0
	v_cmp_ne_u32_e64 s0, 0, v9
	v_cmp_eq_u32_e64 s1, 3, v14
	s_wait_alu 0xf1ff
	s_delay_alu instid0(VALU_DEP_3) | instskip(NEXT) | instid1(VALU_DEP_3)
	v_cndmask_b32_e64 v8, 0x7c00, v8, s2
	v_cndmask_b32_e64 v9, 0, 1, s0
	v_cmp_lt_i32_e64 s0, 5, v14
	s_delay_alu instid0(VALU_DEP_2) | instskip(NEXT) | instid1(VALU_DEP_2)
	v_lshl_or_b32 v9, v9, 9, 0x7c00
	s_or_b32 s0, s1, s0
	s_wait_alu 0xfffe
	v_add_co_ci_u32_e64 v11, s0, 0, v11, s0
	v_cmp_ne_u32_e64 s0, 0, v1
	s_wait_alu 0xf1ff
	s_delay_alu instid0(VALU_DEP_1) | instskip(SKIP_1) | instid1(VALU_DEP_2)
	v_cndmask_b32_e64 v1, 0, 1, s0
	v_cmp_eq_u32_e64 s0, 0x40f, v20
	v_lshl_or_b32 v1, v1, 9, 0x7c00
	s_wait_alu 0xf1ff
	s_delay_alu instid0(VALU_DEP_2) | instskip(SKIP_3) | instid1(VALU_DEP_2)
	v_cndmask_b32_e64 v8, v8, v9, s0
	v_cmp_gt_i32_e64 s0, 31, v19
	v_lshrrev_b32_e32 v9, 16, v10
	s_wait_alu 0xf1ff
	v_cndmask_b32_e64 v10, 0x7c00, v11, s0
	v_cmp_eq_u32_e64 s0, 0x40f, v19
	v_and_or_b32 v11, 0x8000, v5, v4
	v_and_or_b32 v8, 0x8000, v9, v8
	v_lshrrev_b32_e32 v9, 16, v12
	s_wait_alu 0xf1ff
	v_cndmask_b32_e64 v1, v10, v1, s0
	v_add_co_u32 v4, s0, v6, s4
	s_wait_alu 0xf1ff
	v_add_co_ci_u32_e64 v5, s0, s5, v7, s0
	v_lshl_or_b32 v10, v11, 16, v0
	v_and_or_b32 v0, 0x8000, v9, v1
	v_and_b32_e32 v1, 0xffff, v8
	v_add_co_u32 v8, s0, v4, s8
	s_wait_alu 0xf1ff
	v_add_co_ci_u32_e64 v9, s0, s9, v5, s0
	s_delay_alu instid0(VALU_DEP_3) | instskip(NEXT) | instid1(VALU_DEP_3)
	v_lshl_or_b32 v11, v0, 16, v1
	v_add_co_u32 v0, s0, v8, s4
	s_wait_alu 0xf1ff
	s_delay_alu instid0(VALU_DEP_3)
	v_add_co_ci_u32_e64 v1, s0, s5, v9, s0
	global_store_b32 v[2:3], v17, off
	global_store_b32 v[6:7], v13, off
	;; [unrolled: 1-line block ×5, first 2 shown]
	s_and_b32 exec_lo, exec_lo, vcc_lo
	s_cbranch_execz .LBB0_39
; %bb.38:
	global_load_b32 v2, v[24:25], off offset:1568
	ds_load_b32 v3, v55 offset:1568
	ds_load_b32 v6, v55 offset:3248
	s_wait_dscnt 0x1
	v_lshrrev_b32_e32 v4, 16, v3
	s_wait_loadcnt 0x0
	v_lshrrev_b32_e32 v5, 16, v2
	s_delay_alu instid0(VALU_DEP_1) | instskip(SKIP_1) | instid1(VALU_DEP_2)
	v_mul_f16_e32 v7, v4, v5
	v_mul_f16_e32 v5, v3, v5
	v_fmac_f16_e32 v7, v3, v2
	s_delay_alu instid0(VALU_DEP_2) | instskip(NEXT) | instid1(VALU_DEP_2)
	v_fma_f16 v2, v2, v4, -v5
	v_cvt_f32_f16_e32 v3, v7
	s_delay_alu instid0(VALU_DEP_2) | instskip(NEXT) | instid1(VALU_DEP_2)
	v_cvt_f32_f16_e32 v4, v2
	v_cvt_f64_f32_e32 v[2:3], v3
	s_delay_alu instid0(VALU_DEP_2) | instskip(NEXT) | instid1(VALU_DEP_2)
	v_cvt_f64_f32_e32 v[4:5], v4
	v_mul_f64_e32 v[2:3], s[6:7], v[2:3]
	s_delay_alu instid0(VALU_DEP_2) | instskip(NEXT) | instid1(VALU_DEP_2)
	v_mul_f64_e32 v[4:5], s[6:7], v[4:5]
	v_and_or_b32 v2, 0x1ff, v3, v2
	s_delay_alu instid0(VALU_DEP_2)
	v_and_or_b32 v4, 0x1ff, v5, v4
	v_lshrrev_b32_e32 v7, 8, v3
	v_bfe_u32 v8, v3, 20, 11
	v_lshrrev_b32_e32 v9, 8, v5
	v_cmp_ne_u32_e32 vcc_lo, 0, v2
	v_bfe_u32 v10, v5, 20, 11
	v_lshrrev_b32_e32 v3, 16, v3
	v_sub_nc_u32_e32 v11, 0x3f1, v8
	v_lshrrev_b32_e32 v5, 16, v5
	s_wait_alu 0xfffd
	v_cndmask_b32_e64 v2, 0, 1, vcc_lo
	v_cmp_ne_u32_e32 vcc_lo, 0, v4
	s_delay_alu instid0(VALU_DEP_2) | instskip(SKIP_3) | instid1(VALU_DEP_2)
	v_and_or_b32 v2, 0xffe, v7, v2
	s_wait_alu 0xfffd
	v_cndmask_b32_e64 v4, 0, 1, vcc_lo
	v_sub_nc_u32_e32 v7, 0x3f1, v10
	v_and_or_b32 v4, 0xffe, v9, v4
	v_med3_i32 v9, v11, 0, 13
	v_or_b32_e32 v11, 0x1000, v2
	s_delay_alu instid0(VALU_DEP_4) | instskip(NEXT) | instid1(VALU_DEP_4)
	v_med3_i32 v7, v7, 0, 13
	v_or_b32_e32 v12, 0x1000, v4
	s_delay_alu instid0(VALU_DEP_3) | instskip(NEXT) | instid1(VALU_DEP_2)
	v_lshrrev_b32_e32 v13, v9, v11
	v_lshrrev_b32_e32 v14, v7, v12
	s_delay_alu instid0(VALU_DEP_2) | instskip(NEXT) | instid1(VALU_DEP_2)
	v_lshlrev_b32_e32 v9, v9, v13
	v_lshlrev_b32_e32 v7, v7, v14
	s_delay_alu instid0(VALU_DEP_2) | instskip(SKIP_2) | instid1(VALU_DEP_3)
	v_cmp_ne_u32_e32 vcc_lo, v9, v11
	s_wait_alu 0xfffd
	v_cndmask_b32_e64 v9, 0, 1, vcc_lo
	v_cmp_ne_u32_e32 vcc_lo, v7, v12
	s_delay_alu instid0(VALU_DEP_2) | instskip(SKIP_3) | instid1(VALU_DEP_2)
	v_or_b32_e32 v9, v13, v9
	v_add_nc_u32_e32 v8, 0xfffffc10, v8
	s_wait_alu 0xfffd
	v_cndmask_b32_e64 v7, 0, 1, vcc_lo
	v_lshl_or_b32 v11, v8, 12, v2
	s_delay_alu instid0(VALU_DEP_2) | instskip(SKIP_2) | instid1(VALU_DEP_2)
	v_or_b32_e32 v7, v14, v7
	v_add_nc_u32_e32 v10, 0xfffffc10, v10
	v_cmp_gt_i32_e32 vcc_lo, 1, v8
	v_lshl_or_b32 v12, v10, 12, v4
	s_wait_alu 0xfffd
	v_cndmask_b32_e32 v9, v11, v9, vcc_lo
	v_cmp_gt_i32_e32 vcc_lo, 1, v10
	s_wait_alu 0xfffd
	v_cndmask_b32_e32 v7, v12, v7, vcc_lo
	v_cmp_ne_u32_e32 vcc_lo, 0, v2
	s_wait_alu 0xfffd
	v_cndmask_b32_e64 v2, 0, 1, vcc_lo
	v_cmp_ne_u32_e32 vcc_lo, 0, v4
	s_delay_alu instid0(VALU_DEP_2) | instskip(SKIP_4) | instid1(VALU_DEP_3)
	v_lshl_or_b32 v2, v2, 9, 0x7c00
	v_and_b32_e32 v11, 7, v9
	s_wait_alu 0xfffd
	v_cndmask_b32_e64 v4, 0, 1, vcc_lo
	v_lshrrev_b32_e32 v9, 2, v9
	v_cmp_lt_i32_e32 vcc_lo, 5, v11
	v_cmp_eq_u32_e64 s0, 3, v11
	s_delay_alu instid0(VALU_DEP_4) | instskip(NEXT) | instid1(VALU_DEP_2)
	v_lshl_or_b32 v4, v4, 9, 0x7c00
	s_or_b32 vcc_lo, s0, vcc_lo
	s_wait_alu 0xfffe
	v_add_co_ci_u32_e32 v9, vcc_lo, 0, v9, vcc_lo
	v_and_b32_e32 v12, 7, v7
	v_lshrrev_b32_e32 v7, 2, v7
	s_delay_alu instid0(VALU_DEP_2) | instskip(SKIP_1) | instid1(VALU_DEP_1)
	v_cmp_lt_i32_e64 s1, 5, v12
	v_cmp_eq_u32_e64 s2, 3, v12
	s_or_b32 vcc_lo, s2, s1
	s_wait_alu 0xfffe
	v_add_co_ci_u32_e32 v7, vcc_lo, 0, v7, vcc_lo
	v_cmp_gt_i32_e32 vcc_lo, 31, v8
	s_wait_alu 0xfffd
	v_cndmask_b32_e32 v9, 0x7c00, v9, vcc_lo
	v_cmp_gt_i32_e32 vcc_lo, 31, v10
	s_wait_alu 0xfffd
	v_cndmask_b32_e32 v7, 0x7c00, v7, vcc_lo
	v_cmp_eq_u32_e32 vcc_lo, 0x40f, v8
	s_wait_alu 0xfffd
	v_cndmask_b32_e32 v2, v9, v2, vcc_lo
	v_cmp_eq_u32_e32 vcc_lo, 0x40f, v10
	s_delay_alu instid0(VALU_DEP_2)
	v_and_or_b32 v2, 0x8000, v3, v2
	s_wait_alu 0xfffd
	v_cndmask_b32_e32 v4, v7, v4, vcc_lo
	v_add_co_u32 v0, vcc_lo, v0, s8
	s_wait_alu 0xfffd
	v_add_co_ci_u32_e32 v1, vcc_lo, s9, v1, vcc_lo
	s_delay_alu instid0(VALU_DEP_3) | instskip(SKIP_1) | instid1(VALU_DEP_1)
	v_and_or_b32 v3, 0x8000, v5, v4
	v_and_b32_e32 v2, 0xffff, v2
	v_lshl_or_b32 v2, v3, 16, v2
	s_wait_dscnt 0x0
	v_lshrrev_b32_e32 v3, 16, v6
	global_store_b32 v[0:1], v2, off
	global_load_b32 v2, v[24:25], off offset:3248
	s_wait_loadcnt 0x0
	v_lshrrev_b32_e32 v4, 16, v2
	s_delay_alu instid0(VALU_DEP_1) | instskip(SKIP_1) | instid1(VALU_DEP_2)
	v_mul_f16_e32 v5, v3, v4
	v_mul_f16_e32 v4, v6, v4
	v_fmac_f16_e32 v5, v6, v2
	s_delay_alu instid0(VALU_DEP_2) | instskip(NEXT) | instid1(VALU_DEP_2)
	v_fma_f16 v2, v2, v3, -v4
	v_cvt_f32_f16_e32 v3, v5
	s_delay_alu instid0(VALU_DEP_2) | instskip(NEXT) | instid1(VALU_DEP_2)
	v_cvt_f32_f16_e32 v4, v2
	v_cvt_f64_f32_e32 v[2:3], v3
	s_delay_alu instid0(VALU_DEP_2) | instskip(NEXT) | instid1(VALU_DEP_2)
	v_cvt_f64_f32_e32 v[4:5], v4
	v_mul_f64_e32 v[2:3], s[6:7], v[2:3]
	s_delay_alu instid0(VALU_DEP_2) | instskip(NEXT) | instid1(VALU_DEP_2)
	v_mul_f64_e32 v[4:5], s[6:7], v[4:5]
	v_and_or_b32 v2, 0x1ff, v3, v2
	s_delay_alu instid0(VALU_DEP_2)
	v_and_or_b32 v4, 0x1ff, v5, v4
	v_lshrrev_b32_e32 v6, 8, v3
	v_bfe_u32 v7, v3, 20, 11
	v_lshrrev_b32_e32 v8, 8, v5
	v_cmp_ne_u32_e32 vcc_lo, 0, v2
	v_bfe_u32 v9, v5, 20, 11
	v_lshrrev_b32_e32 v3, 16, v3
	v_sub_nc_u32_e32 v10, 0x3f1, v7
	v_lshrrev_b32_e32 v5, 16, v5
	s_wait_alu 0xfffd
	v_cndmask_b32_e64 v2, 0, 1, vcc_lo
	v_cmp_ne_u32_e32 vcc_lo, 0, v4
	s_delay_alu instid0(VALU_DEP_2) | instskip(SKIP_4) | instid1(VALU_DEP_3)
	v_and_or_b32 v2, 0xffe, v6, v2
	s_wait_alu 0xfffd
	v_cndmask_b32_e64 v4, 0, 1, vcc_lo
	v_sub_nc_u32_e32 v6, 0x3f1, v9
	v_add_nc_u32_e32 v9, 0xfffffc10, v9
	v_and_or_b32 v4, 0xffe, v8, v4
	v_med3_i32 v8, v10, 0, 13
	v_or_b32_e32 v10, 0x1000, v2
	v_med3_i32 v6, v6, 0, 13
	s_delay_alu instid0(VALU_DEP_4) | instskip(NEXT) | instid1(VALU_DEP_3)
	v_or_b32_e32 v11, 0x1000, v4
	v_lshrrev_b32_e32 v12, v8, v10
	s_delay_alu instid0(VALU_DEP_2) | instskip(NEXT) | instid1(VALU_DEP_2)
	v_lshrrev_b32_e32 v13, v6, v11
	v_lshlrev_b32_e32 v8, v8, v12
	s_delay_alu instid0(VALU_DEP_2) | instskip(NEXT) | instid1(VALU_DEP_2)
	v_lshlrev_b32_e32 v6, v6, v13
	v_cmp_ne_u32_e32 vcc_lo, v8, v10
	s_wait_alu 0xfffd
	v_cndmask_b32_e64 v8, 0, 1, vcc_lo
	s_delay_alu instid0(VALU_DEP_3) | instskip(SKIP_1) | instid1(VALU_DEP_3)
	v_cmp_ne_u32_e32 vcc_lo, v6, v11
	v_lshl_or_b32 v11, v9, 12, v4
	v_or_b32_e32 v8, v12, v8
	s_wait_alu 0xfffd
	v_cndmask_b32_e64 v6, 0, 1, vcc_lo
	s_delay_alu instid0(VALU_DEP_1) | instskip(SKIP_1) | instid1(VALU_DEP_1)
	v_or_b32_e32 v6, v13, v6
	v_add_nc_u32_e32 v7, 0xfffffc10, v7
	v_lshl_or_b32 v10, v7, 12, v2
	v_cmp_gt_i32_e32 vcc_lo, 1, v7
	s_wait_alu 0xfffd
	s_delay_alu instid0(VALU_DEP_2) | instskip(SKIP_1) | instid1(VALU_DEP_2)
	v_cndmask_b32_e32 v8, v10, v8, vcc_lo
	v_cmp_gt_i32_e32 vcc_lo, 1, v9
	v_and_b32_e32 v10, 7, v8
	s_wait_alu 0xfffd
	v_cndmask_b32_e32 v6, v11, v6, vcc_lo
	v_cmp_ne_u32_e32 vcc_lo, 0, v2
	v_lshrrev_b32_e32 v8, 2, v8
	v_cmp_eq_u32_e64 s0, 3, v10
	s_wait_alu 0xfffd
	v_cndmask_b32_e64 v2, 0, 1, vcc_lo
	v_cmp_ne_u32_e32 vcc_lo, 0, v4
	s_delay_alu instid0(VALU_DEP_2) | instskip(SKIP_3) | instid1(VALU_DEP_2)
	v_lshl_or_b32 v2, v2, 9, 0x7c00
	s_wait_alu 0xfffd
	v_cndmask_b32_e64 v4, 0, 1, vcc_lo
	v_cmp_lt_i32_e32 vcc_lo, 5, v10
	v_lshl_or_b32 v4, v4, 9, 0x7c00
	s_or_b32 vcc_lo, s0, vcc_lo
	s_wait_alu 0xfffe
	v_add_co_ci_u32_e32 v8, vcc_lo, 0, v8, vcc_lo
	v_and_b32_e32 v11, 7, v6
	v_lshrrev_b32_e32 v6, 2, v6
	s_delay_alu instid0(VALU_DEP_2) | instskip(SKIP_1) | instid1(VALU_DEP_1)
	v_cmp_lt_i32_e64 s1, 5, v11
	v_cmp_eq_u32_e64 s2, 3, v11
	s_or_b32 vcc_lo, s2, s1
	s_wait_alu 0xfffe
	v_add_co_ci_u32_e32 v6, vcc_lo, 0, v6, vcc_lo
	v_cmp_gt_i32_e32 vcc_lo, 31, v7
	s_wait_alu 0xfffd
	v_cndmask_b32_e32 v8, 0x7c00, v8, vcc_lo
	v_cmp_gt_i32_e32 vcc_lo, 31, v9
	s_wait_alu 0xfffd
	v_cndmask_b32_e32 v6, 0x7c00, v6, vcc_lo
	v_cmp_eq_u32_e32 vcc_lo, 0x40f, v7
	s_wait_alu 0xfffd
	v_cndmask_b32_e32 v2, v8, v2, vcc_lo
	v_cmp_eq_u32_e32 vcc_lo, 0x40f, v9
	s_delay_alu instid0(VALU_DEP_2)
	v_and_or_b32 v2, 0x8000, v3, v2
	s_wait_alu 0xfffd
	v_cndmask_b32_e32 v4, v6, v4, vcc_lo
	v_add_co_u32 v0, vcc_lo, v0, s4
	s_wait_alu 0xfffd
	v_add_co_ci_u32_e32 v1, vcc_lo, s5, v1, vcc_lo
	s_delay_alu instid0(VALU_DEP_3) | instskip(SKIP_1) | instid1(VALU_DEP_1)
	v_and_or_b32 v3, 0x8000, v5, v4
	v_and_b32_e32 v2, 0xffff, v2
	v_lshl_or_b32 v2, v3, 16, v2
	global_store_b32 v[0:1], v2, off
.LBB0_39:
	s_nop 0
	s_sendmsg sendmsg(MSG_DEALLOC_VGPRS)
	s_endpgm
	.section	.rodata,"a",@progbits
	.p2align	6, 0x0
	.amdhsa_kernel bluestein_single_back_len840_dim1_half_op_CI_CI
		.amdhsa_group_segment_fixed_size 3360
		.amdhsa_private_segment_fixed_size 0
		.amdhsa_kernarg_size 104
		.amdhsa_user_sgpr_count 2
		.amdhsa_user_sgpr_dispatch_ptr 0
		.amdhsa_user_sgpr_queue_ptr 0
		.amdhsa_user_sgpr_kernarg_segment_ptr 1
		.amdhsa_user_sgpr_dispatch_id 0
		.amdhsa_user_sgpr_private_segment_size 0
		.amdhsa_wavefront_size32 1
		.amdhsa_uses_dynamic_stack 0
		.amdhsa_enable_private_segment 0
		.amdhsa_system_sgpr_workgroup_id_x 1
		.amdhsa_system_sgpr_workgroup_id_y 0
		.amdhsa_system_sgpr_workgroup_id_z 0
		.amdhsa_system_sgpr_workgroup_info 0
		.amdhsa_system_vgpr_workitem_id 0
		.amdhsa_next_free_vgpr 213
		.amdhsa_next_free_sgpr 18
		.amdhsa_reserve_vcc 1
		.amdhsa_float_round_mode_32 0
		.amdhsa_float_round_mode_16_64 0
		.amdhsa_float_denorm_mode_32 3
		.amdhsa_float_denorm_mode_16_64 3
		.amdhsa_fp16_overflow 0
		.amdhsa_workgroup_processor_mode 1
		.amdhsa_memory_ordered 1
		.amdhsa_forward_progress 0
		.amdhsa_round_robin_scheduling 0
		.amdhsa_exception_fp_ieee_invalid_op 0
		.amdhsa_exception_fp_denorm_src 0
		.amdhsa_exception_fp_ieee_div_zero 0
		.amdhsa_exception_fp_ieee_overflow 0
		.amdhsa_exception_fp_ieee_underflow 0
		.amdhsa_exception_fp_ieee_inexact 0
		.amdhsa_exception_int_div_zero 0
	.end_amdhsa_kernel
	.text
.Lfunc_end0:
	.size	bluestein_single_back_len840_dim1_half_op_CI_CI, .Lfunc_end0-bluestein_single_back_len840_dim1_half_op_CI_CI
                                        ; -- End function
	.section	.AMDGPU.csdata,"",@progbits
; Kernel info:
; codeLenInByte = 31828
; NumSgprs: 20
; NumVgprs: 213
; ScratchSize: 0
; MemoryBound: 0
; FloatMode: 240
; IeeeMode: 1
; LDSByteSize: 3360 bytes/workgroup (compile time only)
; SGPRBlocks: 2
; VGPRBlocks: 26
; NumSGPRsForWavesPerEU: 20
; NumVGPRsForWavesPerEU: 213
; Occupancy: 7
; WaveLimiterHint : 1
; COMPUTE_PGM_RSRC2:SCRATCH_EN: 0
; COMPUTE_PGM_RSRC2:USER_SGPR: 2
; COMPUTE_PGM_RSRC2:TRAP_HANDLER: 0
; COMPUTE_PGM_RSRC2:TGID_X_EN: 1
; COMPUTE_PGM_RSRC2:TGID_Y_EN: 0
; COMPUTE_PGM_RSRC2:TGID_Z_EN: 0
; COMPUTE_PGM_RSRC2:TIDIG_COMP_CNT: 0
	.text
	.p2alignl 7, 3214868480
	.fill 96, 4, 3214868480
	.type	__hip_cuid_f1ca7d863e1e82af,@object ; @__hip_cuid_f1ca7d863e1e82af
	.section	.bss,"aw",@nobits
	.globl	__hip_cuid_f1ca7d863e1e82af
__hip_cuid_f1ca7d863e1e82af:
	.byte	0                               ; 0x0
	.size	__hip_cuid_f1ca7d863e1e82af, 1

	.ident	"AMD clang version 19.0.0git (https://github.com/RadeonOpenCompute/llvm-project roc-6.4.0 25133 c7fe45cf4b819c5991fe208aaa96edf142730f1d)"
	.section	".note.GNU-stack","",@progbits
	.addrsig
	.addrsig_sym __hip_cuid_f1ca7d863e1e82af
	.amdgpu_metadata
---
amdhsa.kernels:
  - .args:
      - .actual_access:  read_only
        .address_space:  global
        .offset:         0
        .size:           8
        .value_kind:     global_buffer
      - .actual_access:  read_only
        .address_space:  global
        .offset:         8
        .size:           8
        .value_kind:     global_buffer
      - .actual_access:  read_only
        .address_space:  global
        .offset:         16
        .size:           8
        .value_kind:     global_buffer
      - .actual_access:  read_only
        .address_space:  global
        .offset:         24
        .size:           8
        .value_kind:     global_buffer
      - .actual_access:  read_only
        .address_space:  global
        .offset:         32
        .size:           8
        .value_kind:     global_buffer
      - .offset:         40
        .size:           8
        .value_kind:     by_value
      - .address_space:  global
        .offset:         48
        .size:           8
        .value_kind:     global_buffer
      - .address_space:  global
        .offset:         56
        .size:           8
        .value_kind:     global_buffer
      - .address_space:  global
        .offset:         64
        .size:           8
        .value_kind:     global_buffer
      - .address_space:  global
        .offset:         72
        .size:           8
        .value_kind:     global_buffer
      - .offset:         80
        .size:           4
        .value_kind:     by_value
      - .address_space:  global
        .offset:         88
        .size:           8
        .value_kind:     global_buffer
      - .address_space:  global
        .offset:         96
        .size:           8
        .value_kind:     global_buffer
    .group_segment_fixed_size: 3360
    .kernarg_segment_align: 8
    .kernarg_segment_size: 104
    .language:       OpenCL C
    .language_version:
      - 2
      - 0
    .max_flat_workgroup_size: 56
    .name:           bluestein_single_back_len840_dim1_half_op_CI_CI
    .private_segment_fixed_size: 0
    .sgpr_count:     20
    .sgpr_spill_count: 0
    .symbol:         bluestein_single_back_len840_dim1_half_op_CI_CI.kd
    .uniform_work_group_size: 1
    .uses_dynamic_stack: false
    .vgpr_count:     213
    .vgpr_spill_count: 0
    .wavefront_size: 32
    .workgroup_processor_mode: 1
amdhsa.target:   amdgcn-amd-amdhsa--gfx1201
amdhsa.version:
  - 1
  - 2
...

	.end_amdgpu_metadata
